;; amdgpu-corpus repo=ROCm/rocFFT kind=compiled arch=gfx1201 opt=O3
	.text
	.amdgcn_target "amdgcn-amd-amdhsa--gfx1201"
	.amdhsa_code_object_version 6
	.protected	bluestein_single_back_len2040_dim1_sp_op_CI_CI ; -- Begin function bluestein_single_back_len2040_dim1_sp_op_CI_CI
	.globl	bluestein_single_back_len2040_dim1_sp_op_CI_CI
	.p2align	8
	.type	bluestein_single_back_len2040_dim1_sp_op_CI_CI,@function
bluestein_single_back_len2040_dim1_sp_op_CI_CI: ; @bluestein_single_back_len2040_dim1_sp_op_CI_CI
; %bb.0:
	s_load_b128 s[4:7], s[0:1], 0x28
	v_mul_u32_u24_e32 v1, 0x182, v0
	s_mov_b32 s2, exec_lo
	v_mov_b32_e32 v109, 0
	s_delay_alu instid0(VALU_DEP_2) | instskip(NEXT) | instid1(VALU_DEP_1)
	v_lshrrev_b32_e32 v1, 16, v1
	v_add_nc_u32_e32 v108, ttmp9, v1
	s_wait_kmcnt 0x0
	s_delay_alu instid0(VALU_DEP_1)
	v_cmpx_gt_u64_e64 s[4:5], v[108:109]
	s_cbranch_execz .LBB0_23
; %bb.1:
	v_mul_lo_u16 v1, 0xaa, v1
	s_clause 0x1
	s_load_b64 s[12:13], s[0:1], 0x0
	s_load_b64 s[14:15], s[0:1], 0x38
	s_delay_alu instid0(VALU_DEP_1) | instskip(NEXT) | instid1(VALU_DEP_1)
	v_sub_nc_u16 v0, v0, v1
	v_and_b32_e32 v123, 0xffff, v0
	v_cmp_gt_u16_e32 vcc_lo, 0x78, v0
	s_delay_alu instid0(VALU_DEP_2)
	v_lshlrev_b32_e32 v122, 3, v123
	v_or_b32_e32 v121, 0x780, v123
	s_and_saveexec_b32 s3, vcc_lo
	s_cbranch_execz .LBB0_3
; %bb.2:
	s_load_b64 s[4:5], s[0:1], 0x18
	v_add_nc_u32_e32 v72, 0x400, v122
	s_wait_kmcnt 0x0
	s_load_b128 s[8:11], s[4:5], 0x0
	s_clause 0x7
	global_load_b64 v[4:5], v122, s[12:13]
	global_load_b64 v[6:7], v122, s[12:13] offset:960
	global_load_b64 v[8:9], v122, s[12:13] offset:1920
	;; [unrolled: 1-line block ×7, first 2 shown]
	s_wait_kmcnt 0x0
	v_mad_co_u64_u32 v[0:1], null, s10, v108, 0
	v_mad_co_u64_u32 v[2:3], null, s8, v123, 0
	s_mul_u64 s[4:5], s[8:9], 0x3c0
	s_delay_alu instid0(VALU_DEP_1) | instskip(SKIP_1) | instid1(VALU_DEP_1)
	v_mad_co_u64_u32 v[20:21], null, s11, v108, v[1:2]
	v_mad_co_u64_u32 v[21:22], null, s8, v121, 0
	v_dual_mov_b32 v1, v20 :: v_dual_mov_b32 v20, v22
	s_delay_alu instid0(VALU_DEP_1)
	v_lshlrev_b64_e32 v[0:1], 3, v[0:1]
	s_wait_loadcnt 0x7
	v_mad_co_u64_u32 v[23:24], null, s9, v123, v[3:4]
	s_clause 0x6
	global_load_b64 v[24:25], v122, s[12:13] offset:7680
	global_load_b64 v[26:27], v122, s[12:13] offset:8640
	global_load_b64 v[28:29], v122, s[12:13] offset:9600
	global_load_b64 v[30:31], v122, s[12:13] offset:10560
	global_load_b64 v[32:33], v122, s[12:13] offset:11520
	global_load_b64 v[34:35], v122, s[12:13] offset:12480
	global_load_b64 v[36:37], v122, s[12:13] offset:15360
	v_mov_b32_e32 v3, v23
	v_mad_co_u64_u32 v[22:23], null, s9, v121, v[20:21]
	v_add_co_u32 v23, s2, s6, v0
	s_delay_alu instid0(VALU_DEP_3) | instskip(SKIP_1) | instid1(VALU_DEP_2)
	v_lshlrev_b64_e32 v[2:3], 3, v[2:3]
	v_add_co_ci_u32_e64 v38, s2, s7, v1, s2
	v_add_co_u32 v0, s2, v23, v2
	s_wait_alu 0xf1ff
	s_delay_alu instid0(VALU_DEP_2)
	v_add_co_ci_u32_e64 v1, s2, v38, v3, s2
	v_lshlrev_b64_e32 v[2:3], 3, v[21:22]
	s_wait_alu 0xfffe
	v_add_co_u32 v20, s2, v0, s4
	s_wait_alu 0xf1ff
	v_add_co_ci_u32_e64 v21, s2, s5, v1, s2
	global_load_b64 v[0:1], v[0:1], off
	v_add_co_u32 v2, s2, v23, v2
	s_wait_alu 0xf1ff
	v_add_co_ci_u32_e64 v3, s2, v38, v3, s2
	v_add_co_u32 v22, s2, v20, s4
	s_wait_alu 0xf1ff
	v_add_co_ci_u32_e64 v23, s2, s5, v21, s2
	global_load_b64 v[2:3], v[2:3], off
	v_add_co_u32 v38, s2, v22, s4
	s_wait_alu 0xf1ff
	v_add_co_ci_u32_e64 v39, s2, s5, v23, s2
	v_add_nc_u32_e32 v73, 0xc00, v122
	s_delay_alu instid0(VALU_DEP_3) | instskip(SKIP_1) | instid1(VALU_DEP_3)
	v_add_co_u32 v40, s2, v38, s4
	s_wait_alu 0xf1ff
	v_add_co_ci_u32_e64 v41, s2, s5, v39, s2
	s_clause 0x2
	global_load_b64 v[20:21], v[20:21], off
	global_load_b64 v[22:23], v[22:23], off
	global_load_b64 v[38:39], v[38:39], off
	v_add_co_u32 v42, s2, v40, s4
	s_wait_alu 0xf1ff
	v_add_co_ci_u32_e64 v43, s2, s5, v41, s2
	global_load_b64 v[40:41], v[40:41], off
	v_add_co_u32 v44, s2, v42, s4
	s_wait_alu 0xf1ff
	v_add_co_ci_u32_e64 v45, s2, s5, v43, s2
	global_load_b64 v[42:43], v[42:43], off
	;; [unrolled: 4-line block ×11, first 2 shown]
	s_clause 0x1
	global_load_b64 v[64:65], v122, s[12:13] offset:13440
	global_load_b64 v[66:67], v122, s[12:13] offset:14400
	global_load_b64 v[62:63], v[62:63], off
	v_add_nc_u32_e32 v74, 0x1400, v122
	v_add_nc_u32_e32 v75, 0x1c00, v122
	;; [unrolled: 1-line block ×4, first 2 shown]
	s_wait_loadcnt 0x12
	v_mul_f32_e32 v68, v1, v5
	v_mul_f32_e32 v5, v0, v5
	s_delay_alu instid0(VALU_DEP_2) | instskip(NEXT) | instid1(VALU_DEP_2)
	v_dual_fmac_f32 v68, v0, v4 :: v_dual_add_nc_u32 v77, 0x2c00, v122
	v_fma_f32 v69, v1, v4, -v5
	s_wait_loadcnt 0x11
	v_mul_f32_e32 v70, v3, v37
	v_mul_f32_e32 v37, v2, v37
	s_delay_alu instid0(VALU_DEP_2) | instskip(NEXT) | instid1(VALU_DEP_2)
	v_fmac_f32_e32 v70, v2, v36
	v_fma_f32 v71, v3, v36, -v37
	s_wait_loadcnt 0xf
	v_dual_mul_f32 v0, v21, v7 :: v_dual_mul_f32 v3, v22, v9
	v_dual_mul_f32 v1, v20, v7 :: v_dual_mul_f32 v2, v23, v9
	s_wait_loadcnt 0xe
	v_mul_f32_e32 v5, v38, v11
	v_mul_f32_e32 v4, v39, v11
	v_fmac_f32_e32 v0, v20, v6
	v_fma_f32 v1, v21, v6, -v1
	v_fmac_f32_e32 v2, v22, v8
	v_fma_f32 v3, v23, v8, -v3
	s_wait_loadcnt 0xd
	v_mul_f32_e32 v6, v41, v13
	s_wait_loadcnt 0xc
	v_dual_mul_f32 v7, v40, v13 :: v_dual_mul_f32 v8, v43, v15
	v_mul_f32_e32 v9, v42, v15
	v_fmac_f32_e32 v4, v38, v10
	v_fma_f32 v5, v39, v10, -v5
	s_delay_alu instid0(VALU_DEP_4)
	v_fma_f32 v7, v41, v12, -v7
	ds_store_2addr_b64 v122, v[68:69], v[0:1] offset1:120
	ds_store_2addr_b64 v72, v[2:3], v[4:5] offset0:112 offset1:232
	v_fma_f32 v9, v43, v14, -v9
	s_wait_loadcnt 0xa
	v_dual_mul_f32 v0, v45, v17 :: v_dual_mul_f32 v3, v46, v19
	v_fmac_f32_e32 v6, v40, v12
	v_dual_mul_f32 v1, v44, v17 :: v_dual_mul_f32 v2, v47, v19
	s_wait_loadcnt 0x9
	v_mul_f32_e32 v4, v49, v25
	v_mul_f32_e32 v5, v48, v25
	s_delay_alu instid0(VALU_DEP_3) | instskip(SKIP_2) | instid1(VALU_DEP_4)
	v_fma_f32 v1, v45, v16, -v1
	v_fmac_f32_e32 v2, v46, v18
	v_fma_f32 v3, v47, v18, -v3
	v_fma_f32 v5, v49, v24, -v5
	s_wait_loadcnt 0x6
	v_mul_f32_e32 v10, v55, v31
	v_dual_mul_f32 v11, v54, v31 :: v_dual_fmac_f32 v0, v44, v16
	s_wait_loadcnt 0x5
	v_dual_mul_f32 v13, v56, v33 :: v_dual_fmac_f32 v8, v42, v14
	v_mul_f32_e32 v12, v57, v33
	v_fmac_f32_e32 v10, v54, v30
	v_fma_f32 v11, v55, v30, -v11
	s_wait_loadcnt 0x4
	v_mul_f32_e32 v14, v59, v35
	v_dual_mul_f32 v15, v58, v35 :: v_dual_fmac_f32 v12, v56, v32
	s_wait_loadcnt 0x2
	v_mul_f32_e32 v17, v60, v65
	ds_store_2addr_b64 v73, v[6:7], v[8:9] offset0:96 offset1:216
	v_mul_f32_e32 v6, v51, v27
	v_dual_mul_f32 v7, v50, v27 :: v_dual_mul_f32 v8, v53, v29
	v_mul_f32_e32 v9, v52, v29
	v_mul_f32_e32 v16, v61, v65
	s_wait_loadcnt 0x0
	v_mul_f32_e32 v18, v63, v67
	v_dual_mul_f32 v19, v62, v67 :: v_dual_fmac_f32 v4, v48, v24
	v_fmac_f32_e32 v6, v50, v26
	v_fma_f32 v7, v51, v26, -v7
	v_fmac_f32_e32 v8, v52, v28
	v_fma_f32 v9, v53, v28, -v9
	v_fma_f32 v13, v57, v32, -v13
	v_fmac_f32_e32 v14, v58, v34
	v_fma_f32 v15, v59, v34, -v15
	v_fmac_f32_e32 v16, v60, v64
	;; [unrolled: 2-line block ×3, first 2 shown]
	v_fma_f32 v19, v63, v66, -v19
	ds_store_2addr_b64 v74, v[0:1], v[2:3] offset0:80 offset1:200
	ds_store_2addr_b64 v75, v[4:5], v[6:7] offset0:64 offset1:184
	;; [unrolled: 1-line block ×5, first 2 shown]
	ds_store_b64 v122, v[70:71] offset:15360
.LBB0_3:
	s_or_b32 exec_lo, exec_lo, s3
	s_clause 0x1
	s_load_b64 s[4:5], s[0:1], 0x20
	s_load_b64 s[2:3], s[0:1], 0x8
	v_mov_b32_e32 v0, 0
	v_mov_b32_e32 v1, 0
                                        ; kill: def $vgpr2 killed $sgpr0 killed $exec
	global_wb scope:SCOPE_SE
	s_wait_dscnt 0x0
	s_wait_kmcnt 0x0
	s_barrier_signal -1
	s_barrier_wait -1
	global_inv scope:SCOPE_SE
                                        ; implicit-def: $vgpr14
                                        ; implicit-def: $vgpr8
                                        ; implicit-def: $vgpr4
                                        ; implicit-def: $vgpr32
                                        ; implicit-def: $vgpr22
                                        ; implicit-def: $vgpr30
                                        ; implicit-def: $vgpr18
                                        ; implicit-def: $vgpr26
	s_and_saveexec_b32 s0, vcc_lo
	s_cbranch_execz .LBB0_5
; %bb.4:
	v_add_nc_u32_e32 v4, 0x400, v122
	v_add_nc_u32_e32 v5, 0xc00, v122
	;; [unrolled: 1-line block ×3, first 2 shown]
	ds_load_2addr_b64 v[0:3], v122 offset1:120
	v_add_nc_u32_e32 v7, 0x2c00, v122
	ds_load_2addr_b64 v[24:27], v4 offset0:112 offset1:232
	ds_load_2addr_b64 v[16:19], v5 offset0:96 offset1:216
	v_add_nc_u32_e32 v4, 0x1c00, v122
	v_add_nc_u32_e32 v5, 0x2400, v122
	;; [unrolled: 1-line block ×3, first 2 shown]
	ds_load_2addr_b64 v[28:31], v6 offset0:80 offset1:200
	ds_load_2addr_b64 v[20:23], v4 offset0:64 offset1:184
	;; [unrolled: 1-line block ×5, first 2 shown]
	ds_load_b64 v[32:33], v122 offset:15360
.LBB0_5:
	s_wait_alu 0xfffe
	s_or_b32 exec_lo, exec_lo, s0
	s_wait_dscnt 0x0
	v_dual_sub_f32 v40, v3, v33 :: v_dual_add_f32 v43, v33, v3
	v_dual_sub_f32 v38, v2, v32 :: v_dual_sub_f32 v41, v25, v7
	s_delay_alu instid0(VALU_DEP_2) | instskip(NEXT) | instid1(VALU_DEP_2)
	v_dual_sub_f32 v110, v24, v6 :: v_dual_mul_f32 v81, 0xbf65296c, v40
	v_dual_mul_f32 v48, 0xbeb8f4ab, v40 :: v_dual_mul_f32 v51, 0xbeb8f4ab, v38
	v_dual_mul_f32 v58, 0xbf2c7751, v40 :: v_dual_mul_f32 v73, 0xbf2c7751, v38
	s_delay_alu instid0(VALU_DEP_3) | instskip(NEXT) | instid1(VALU_DEP_3)
	v_dual_add_f32 v44, v6, v24 :: v_dual_mul_f32 v79, 0xbf7ee86f, v110
	v_fma_f32 v35, 0x3f6eb680, v43, -v51
	v_add_f32_e32 v42, v32, v2
	s_delay_alu instid0(VALU_DEP_4) | instskip(SKIP_1) | instid1(VALU_DEP_3)
	v_fma_f32 v37, 0x3f3d2fb0, v43, -v73
	v_dual_add_f32 v45, v7, v25 :: v_dual_sub_f32 v112, v26, v4
	v_dual_add_f32 v35, v35, v1 :: v_dual_fmamk_f32 v34, v42, 0x3f6eb680, v48
	s_delay_alu instid0(VALU_DEP_3) | instskip(SKIP_2) | instid1(VALU_DEP_4)
	v_dual_fmamk_f32 v36, v42, 0x3f3d2fb0, v58 :: v_dual_add_f32 v37, v37, v1
	v_mul_f32_e32 v53, 0xbf2c7751, v110
	v_fmamk_f32 v39, v42, 0x3ee437d1, v81
	v_add_f32_e32 v34, v34, v0
	s_delay_alu instid0(VALU_DEP_4) | instskip(SKIP_3) | instid1(VALU_DEP_3)
	v_add_f32_e32 v36, v36, v0
	v_mul_f32_e32 v52, 0xbf2c7751, v41
	v_fma_f32 v47, 0x3f3d2fb0, v45, -v53
	v_dual_add_f32 v39, v39, v0 :: v_dual_mul_f32 v74, 0xbf7ee86f, v41
	v_dual_sub_f32 v109, v27, v5 :: v_dual_fmamk_f32 v46, v44, 0x3f3d2fb0, v52
	s_delay_alu instid0(VALU_DEP_3) | instskip(SKIP_1) | instid1(VALU_DEP_4)
	v_add_f32_e32 v35, v47, v35
	v_add_f32_e32 v47, v5, v27
	v_fmamk_f32 v49, v44, 0x3dbcf732, v74
	v_dual_mul_f32 v88, 0xbf4c4adb, v41 :: v_dual_mul_f32 v83, 0xbf4c4adb, v112
	v_dual_add_f32 v34, v46, v34 :: v_dual_mul_f32 v55, 0xbf65296c, v109
	s_delay_alu instid0(VALU_DEP_3) | instskip(SKIP_3) | instid1(VALU_DEP_2)
	v_add_f32_e32 v36, v49, v36
	v_fma_f32 v49, 0x3dbcf732, v45, -v79
	v_dual_add_f32 v46, v4, v26 :: v_dual_sub_f32 v111, v17, v11
	v_dual_mul_f32 v92, 0x3e3c28d5, v109 :: v_dual_sub_f32 v125, v18, v8
	v_dual_add_f32 v37, v49, v37 :: v_dual_fmamk_f32 v50, v46, 0x3ee437d1, v55
	v_fmamk_f32 v49, v44, 0xbf1a4643, v88
	s_delay_alu instid0(VALU_DEP_4) | instskip(SKIP_1) | instid1(VALU_DEP_4)
	v_dual_mul_f32 v96, 0x3f763a35, v111 :: v_dual_sub_f32 v129, v31, v13
	v_sub_f32_e32 v139, v30, v12
	v_add_f32_e32 v34, v50, v34
	s_delay_alu instid0(VALU_DEP_4) | instskip(SKIP_2) | instid1(VALU_DEP_3)
	v_dual_mul_f32 v56, 0xbf65296c, v112 :: v_dual_add_f32 v39, v49, v39
	v_add_f32_e32 v49, v10, v16
	v_dual_add_f32 v75, v12, v30 :: v_dual_add_f32 v82, v22, v20
	v_fma_f32 v54, 0x3ee437d1, v47, -v56
	v_mul_f32_e32 v80, 0xbf4c4adb, v109
	v_add_f32_e32 v50, v11, v17
	v_dual_mul_f32 v90, 0xbf06c442, v129 :: v_dual_sub_f32 v119, v16, v10
	s_delay_alu instid0(VALU_DEP_4) | instskip(NEXT) | instid1(VALU_DEP_4)
	v_add_f32_e32 v35, v54, v35
	v_fmamk_f32 v57, v46, 0xbf1a4643, v80
	v_fma_f32 v54, 0xbf1a4643, v47, -v83
	v_mul_f32_e32 v62, 0xbf7ee86f, v111
	v_dual_mul_f32 v72, 0xbf7ee86f, v119 :: v_dual_sub_f32 v113, v19, v9
	s_delay_alu instid0(VALU_DEP_3) | instskip(NEXT) | instid1(VALU_DEP_3)
	v_dual_add_f32 v36, v57, v36 :: v_dual_add_f32 v37, v54, v37
	v_fmamk_f32 v57, v49, 0x3dbcf732, v62
	v_mul_f32_e32 v87, 0xbe3c28d5, v111
	s_delay_alu instid0(VALU_DEP_4) | instskip(SKIP_1) | instid1(VALU_DEP_4)
	v_fma_f32 v59, 0x3dbcf732, v50, -v72
	v_fmamk_f32 v54, v46, 0xbf7ba420, v92
	v_dual_mul_f32 v89, 0xbe3c28d5, v119 :: v_dual_add_f32 v34, v57, v34
	v_mul_f32_e32 v77, 0xbf763a35, v113
	s_delay_alu instid0(VALU_DEP_4) | instskip(NEXT) | instid1(VALU_DEP_4)
	v_dual_add_f32 v35, v59, v35 :: v_dual_fmamk_f32 v60, v49, 0xbf7ba420, v87
	v_dual_add_f32 v39, v54, v39 :: v_dual_add_f32 v54, v8, v18
	s_delay_alu instid0(VALU_DEP_4) | instskip(SKIP_1) | instid1(VALU_DEP_4)
	v_fma_f32 v59, 0xbf7ba420, v50, -v89
	v_dual_add_f32 v57, v9, v19 :: v_dual_mul_f32 v78, 0xbf763a35, v125
	v_dual_add_f32 v36, v60, v36 :: v_dual_mul_f32 v93, 0x3f06c442, v113
	s_delay_alu instid0(VALU_DEP_3) | instskip(SKIP_1) | instid1(VALU_DEP_3)
	v_dual_add_f32 v37, v59, v37 :: v_dual_fmamk_f32 v60, v54, 0xbe8c1d8e, v77
	v_dual_fmamk_f32 v59, v49, 0xbe8c1d8e, v96 :: v_dual_sub_f32 v132, v28, v14
	v_dual_fmamk_f32 v63, v54, 0xbf59a7d5, v93 :: v_dual_sub_f32 v124, v29, v15
	s_delay_alu instid0(VALU_DEP_2) | instskip(SKIP_2) | instid1(VALU_DEP_4)
	v_dual_mul_f32 v94, 0x3f06c442, v125 :: v_dual_add_f32 v39, v59, v39
	v_fma_f32 v61, 0xbe8c1d8e, v57, -v78
	v_add_f32_e32 v34, v60, v34
	v_add_f32_e32 v36, v63, v36
	s_delay_alu instid0(VALU_DEP_4) | instskip(SKIP_4) | instid1(VALU_DEP_2)
	v_fma_f32 v60, 0xbf59a7d5, v57, -v94
	v_add_f32_e32 v59, v14, v28
	v_dual_add_f32 v63, v15, v29 :: v_dual_mul_f32 v86, 0xbf4c4adb, v132
	v_dual_mul_f32 v85, 0xbf4c4adb, v124 :: v_dual_add_f32 v76, v13, v31
	v_dual_add_f32 v35, v61, v35 :: v_dual_mul_f32 v98, 0x3f2c7751, v113
	v_dual_add_f32 v37, v60, v37 :: v_dual_fmamk_f32 v60, v59, 0xbf1a4643, v85
	s_delay_alu instid0(VALU_DEP_4) | instskip(SKIP_2) | instid1(VALU_DEP_4)
	v_fma_f32 v64, 0xbf1a4643, v63, -v86
	v_sub_f32_e32 v138, v21, v23
	v_dual_mul_f32 v91, 0xbf06c442, v139 :: v_dual_sub_f32 v140, v20, v22
	v_add_f32_e32 v34, v60, v34
	s_delay_alu instid0(VALU_DEP_4)
	v_dual_add_f32 v35, v64, v35 :: v_dual_mul_f32 v102, 0xbeb8f4ab, v124
	v_fmamk_f32 v64, v75, 0xbf59a7d5, v90
	v_mul_f32_e32 v97, 0x3f763a35, v124
	v_mul_f32_e32 v100, 0x3f763a35, v132
	;; [unrolled: 1-line block ×4, first 2 shown]
	s_delay_alu instid0(VALU_DEP_4)
	v_dual_add_f32 v34, v64, v34 :: v_dual_fmamk_f32 v65, v59, 0xbe8c1d8e, v97
	v_fmamk_f32 v61, v54, 0x3f3d2fb0, v98
	v_fma_f32 v60, 0xbe8c1d8e, v63, -v100
	v_mul_f32_e32 v117, 0x3e3c28d5, v112
	v_dual_mul_f32 v115, 0x3f763a35, v119 :: v_dual_mul_f32 v128, 0x3f763a35, v109
	v_add_f32_e32 v36, v65, v36
	v_add_f32_e32 v39, v61, v39
	;; [unrolled: 1-line block ×3, first 2 shown]
	v_fma_f32 v60, 0xbf59a7d5, v76, -v91
	v_mul_f32_e32 v116, 0xbf65296c, v38
	v_dual_mul_f32 v104, 0x3eb8f4ab, v138 :: v_dual_mul_f32 v105, 0x3eb8f4ab, v140
	s_delay_alu instid0(VALU_DEP_3)
	v_dual_mul_f32 v114, 0x3f2c7751, v125 :: v_dual_add_f32 v35, v60, v35
	v_mul_f32_e32 v118, 0xbf4c4adb, v110
	v_mul_f32_e32 v141, 0xbf7ee86f, v38
	;; [unrolled: 1-line block ×5, first 2 shown]
	v_fma_f32 v67, 0xbf1a4643, v45, -v118
	v_mul_f32_e32 v103, 0x3f65296c, v139
	v_mul_f32_e32 v146, 0xbf65296c, v125
	v_mul_f32_e32 v147, 0xbf06c442, v132
	v_fmamk_f32 v69, v44, 0xbf59a7d5, v156
	v_mul_f32_e32 v144, 0x3eb8f4ab, v119
	v_fma_f32 v60, 0x3ee437d1, v76, -v103
	v_add_f32_e32 v84, v23, v21
	v_mul_f32_e32 v130, 0x3eb8f4ab, v111
	v_mul_f32_e32 v145, 0x3f4c4adb, v139
	v_dual_mul_f32 v149, 0xbf763a35, v40 :: v_dual_mul_f32 v160, 0xbf763a35, v38
	v_add_f32_e32 v37, v60, v37
	v_fma_f32 v60, 0x3ee437d1, v43, -v116
	v_fmamk_f32 v61, v59, 0x3f6eb680, v102
	v_fma_f32 v68, 0x3f6eb680, v84, -v105
	v_dual_mul_f32 v131, 0xbf65296c, v113 :: v_dual_mul_f32 v154, 0xbf65296c, v111
	s_delay_alu instid0(VALU_DEP_3) | instskip(SKIP_4) | instid1(VALU_DEP_4)
	v_dual_add_f32 v66, v60, v1 :: v_dual_add_f32 v39, v61, v39
	v_fmamk_f32 v61, v82, 0xbf7ba420, v95
	v_mul_f32_e32 v101, 0x3f65296c, v129
	v_mul_f32_e32 v137, 0x3f2c7751, v138
	;; [unrolled: 1-line block ×3, first 2 shown]
	v_dual_mul_f32 v161, 0x3f2c7751, v112 :: v_dual_add_f32 v60, v61, v34
	v_add_f32_e32 v34, v67, v66
	v_fma_f32 v66, 0xbf7ba420, v47, -v117
	v_fmamk_f32 v65, v75, 0x3ee437d1, v101
	v_fma_f32 v70, 0xbf59a7d5, v45, -v164
	v_mul_f32_e32 v162, 0xbf65296c, v119
	s_delay_alu instid0(VALU_DEP_4)
	v_dual_mul_f32 v163, 0xbe3c28d5, v125 :: v_dual_add_f32 v34, v66, v34
	v_mul_f32_e32 v99, 0xbe3c28d5, v140
	v_add_f32_e32 v36, v65, v36
	v_mul_f32_e32 v106, 0xbf7ee86f, v129
	v_mul_f32_e32 v155, 0x3f2c7751, v109
	;; [unrolled: 1-line block ×3, first 2 shown]
	v_fma_f32 v64, 0xbf7ba420, v84, -v99
	v_mul_f32_e32 v159, 0x3f7ee86f, v132
	v_dual_mul_f32 v151, 0xbeb8f4ab, v129 :: v_dual_mul_f32 v158, 0xbeb8f4ab, v139
	v_mul_f32_e32 v127, 0xbf06c442, v140
	s_delay_alu instid0(VALU_DEP_4)
	v_add_f32_e32 v61, v64, v35
	v_fmamk_f32 v35, v75, 0x3dbcf732, v106
	v_fma_f32 v64, 0xbe8c1d8e, v50, -v115
	v_mul_f32_e32 v157, 0xbf4c4adb, v140
	global_wb scope:SCOPE_SE
	s_barrier_signal -1
	v_dual_add_f32 v35, v35, v39 :: v_dual_add_f32 v34, v64, v34
	v_fma_f32 v39, 0x3f3d2fb0, v57, -v114
	v_fmamk_f32 v65, v82, 0x3f6eb680, v104
	v_fma_f32 v166, 0xbf1a4643, v84, -v157
	s_barrier_wait -1
	global_inv scope:SCOPE_SE
	v_add_f32_e32 v34, v39, v34
	v_add_f32_e32 v66, v65, v36
	v_fmamk_f32 v36, v82, 0xbf59a7d5, v107
	v_fma_f32 v39, 0xbf7ba420, v45, -v142
	v_dual_mul_f32 v134, 0xbf7ee86f, v40 :: v_dual_add_f32 v67, v68, v37
	v_fma_f32 v68, 0xbe8c1d8e, v43, -v160
	s_delay_alu instid0(VALU_DEP_4)
	v_add_f32_e32 v64, v36, v35
	v_fma_f32 v36, 0x3dbcf732, v43, -v141
	v_mul_f32_e32 v148, 0x3f2c7751, v140
	v_mul_f32_e32 v152, 0x3f7ee86f, v124
	v_add_f32_e32 v68, v68, v1
	v_mul_f32_e32 v150, 0xbf4c4adb, v138
	v_add_f32_e32 v36, v36, v1
	v_fma_f32 v71, 0x3f3d2fb0, v84, -v148
	s_delay_alu instid0(VALU_DEP_4) | instskip(SKIP_1) | instid1(VALU_DEP_4)
	v_add_f32_e32 v68, v70, v68
	v_fma_f32 v70, 0x3f3d2fb0, v47, -v161
	v_add_f32_e32 v36, v39, v36
	v_fma_f32 v39, 0xbe8c1d8e, v47, -v143
	s_delay_alu instid0(VALU_DEP_3) | instskip(SKIP_1) | instid1(VALU_DEP_3)
	v_dual_mul_f32 v135, 0x3f4c4adb, v129 :: v_dual_add_f32 v68, v70, v68
	v_fma_f32 v70, 0x3ee437d1, v50, -v162
	v_add_f32_e32 v36, v39, v36
	v_fma_f32 v39, 0x3f6eb680, v50, -v144
	v_fmamk_f32 v35, v42, 0x3dbcf732, v134
	s_delay_alu instid0(VALU_DEP_4) | instskip(SKIP_1) | instid1(VALU_DEP_4)
	v_add_f32_e32 v68, v70, v68
	v_fma_f32 v70, 0xbf7ba420, v57, -v163
	v_add_f32_e32 v36, v39, v36
	s_delay_alu instid0(VALU_DEP_4) | instskip(SKIP_1) | instid1(VALU_DEP_4)
	v_dual_add_f32 v35, v35, v0 :: v_dual_mul_f32 v136, 0xbe3c28d5, v41
	v_fma_f32 v39, 0x3ee437d1, v57, -v146
	v_add_f32_e32 v68, v70, v68
	v_fma_f32 v70, 0x3dbcf732, v63, -v159
	s_delay_alu instid0(VALU_DEP_3) | instskip(SKIP_1) | instid1(VALU_DEP_3)
	v_dual_fmamk_f32 v37, v44, 0xbf7ba420, v136 :: v_dual_add_f32 v36, v39, v36
	v_fma_f32 v39, 0xbf59a7d5, v63, -v147
	v_add_f32_e32 v68, v70, v68
	v_fma_f32 v70, 0x3f6eb680, v76, -v158
	s_delay_alu instid0(VALU_DEP_4) | instskip(NEXT) | instid1(VALU_DEP_4)
	v_add_f32_e32 v35, v37, v35
	v_dual_fmamk_f32 v37, v46, 0xbe8c1d8e, v128 :: v_dual_add_f32 v36, v39, v36
	v_fma_f32 v39, 0xbf1a4643, v76, -v145
	s_delay_alu instid0(VALU_DEP_4) | instskip(NEXT) | instid1(VALU_DEP_3)
	v_add_f32_e32 v165, v70, v68
	v_add_f32_e32 v35, v37, v35
	s_delay_alu instid0(VALU_DEP_3) | instskip(SKIP_3) | instid1(VALU_DEP_4)
	v_dual_fmamk_f32 v37, v49, 0x3f6eb680, v130 :: v_dual_add_f32 v36, v39, v36
	v_mul_f32_e32 v120, 0xbeb8f4ab, v132
	v_fmamk_f32 v39, v82, 0x3f3d2fb0, v137
	v_mul_f32_e32 v133, 0xbf06c442, v124
	v_add_f32_e32 v35, v37, v35
	v_fmamk_f32 v37, v54, 0x3ee437d1, v131
	v_fma_f32 v65, 0x3f6eb680, v63, -v120
	v_add_f32_e32 v71, v71, v36
	s_delay_alu instid0(VALU_DEP_3) | instskip(NEXT) | instid1(VALU_DEP_3)
	v_add_f32_e32 v35, v37, v35
	v_dual_fmamk_f32 v37, v59, 0xbf59a7d5, v133 :: v_dual_add_f32 v34, v65, v34
	s_delay_alu instid0(VALU_DEP_1) | instskip(SKIP_1) | instid1(VALU_DEP_1)
	v_add_f32_e32 v35, v37, v35
	v_fmamk_f32 v37, v75, 0xbf1a4643, v135
	v_add_f32_e32 v35, v37, v35
	s_delay_alu instid0(VALU_DEP_1) | instskip(NEXT) | instid1(VALU_DEP_1)
	v_dual_fmamk_f32 v37, v42, 0xbe8c1d8e, v149 :: v_dual_add_f32 v70, v39, v35
	v_add_f32_e32 v37, v37, v0
	s_delay_alu instid0(VALU_DEP_1) | instskip(SKIP_1) | instid1(VALU_DEP_1)
	v_add_f32_e32 v37, v69, v37
	v_fmamk_f32 v69, v46, 0x3f3d2fb0, v155
	v_dual_mul_f32 v126, 0xbf7ee86f, v139 :: v_dual_add_f32 v37, v69, v37
	v_fmamk_f32 v69, v49, 0x3ee437d1, v154
	s_delay_alu instid0(VALU_DEP_2) | instskip(NEXT) | instid1(VALU_DEP_2)
	v_fma_f32 v65, 0x3dbcf732, v76, -v126
	v_add_f32_e32 v37, v69, v37
	s_delay_alu instid0(VALU_DEP_2) | instskip(SKIP_1) | instid1(VALU_DEP_2)
	v_dual_fmamk_f32 v69, v54, 0xbf7ba420, v153 :: v_dual_add_f32 v34, v65, v34
	v_fma_f32 v65, 0xbf59a7d5, v84, -v127
	v_add_f32_e32 v37, v69, v37
	v_fmamk_f32 v69, v59, 0x3dbcf732, v152
	s_delay_alu instid0(VALU_DEP_3) | instskip(NEXT) | instid1(VALU_DEP_2)
	v_add_f32_e32 v65, v65, v34
	v_add_f32_e32 v37, v69, v37
	v_fmamk_f32 v69, v75, 0x3f6eb680, v151
	s_delay_alu instid0(VALU_DEP_1) | instskip(SKIP_1) | instid1(VALU_DEP_1)
	v_add_f32_e32 v37, v69, v37
	v_fmamk_f32 v69, v82, 0xbf1a4643, v150
	v_add_f32_e32 v68, v69, v37
	v_add_f32_e32 v69, v166, v165
	s_and_saveexec_b32 s0, vcc_lo
	s_cbranch_execz .LBB0_7
; %bb.6:
	v_mul_f32_e32 v39, 0xbf59a7d5, v43
	v_mul_f32_e32 v168, 0x3dbcf732, v47
	;; [unrolled: 1-line block ×5, first 2 shown]
	v_fmamk_f32 v34, v38, 0x3f06c442, v39
	v_fmamk_f32 v172, v112, 0x3f7ee86f, v168
	v_mul_f32_e32 v181, 0x3f6eb680, v45
	v_dual_fmamk_f32 v184, v82, 0xbe8c1d8e, v182 :: v_dual_mul_f32 v195, 0xbe8c1d8e, v76
	s_delay_alu instid0(VALU_DEP_4)
	v_add_f32_e32 v34, v34, v1
	v_mul_f32_e32 v165, 0x3ee437d1, v45
	v_mul_f32_e32 v179, 0xbf7ba420, v43
	v_fmamk_f32 v188, v44, 0x3f6eb680, v186
	v_fmamk_f32 v174, v49, 0xbf1a4643, v171
	v_mul_f32_e32 v170, 0xbf1a4643, v50
	v_fmamk_f32 v36, v110, 0xbf65296c, v165
	v_fmamk_f32 v180, v38, 0x3e3c28d5, v179
	v_mul_f32_e32 v173, 0x3f6eb680, v57
	v_mul_f32_e32 v175, 0xbf7ba420, v63
	s_delay_alu instid0(VALU_DEP_4)
	v_dual_mul_f32 v177, 0x3f2c7751, v129 :: v_dual_add_f32 v34, v36, v34
	v_mul_f32_e32 v167, 0x3f65296c, v41
	v_mul_f32_e32 v176, 0x3f3d2fb0, v76
	v_fmac_f32_e32 v39, 0xbf06c442, v38
	v_mul_f32_e32 v192, 0x3ee437d1, v63
	v_add_f32_e32 v34, v172, v34
	v_fmamk_f32 v37, v44, 0x3ee437d1, v167
	v_mul_f32_e32 v166, 0xbf06c442, v40
	v_mul_f32_e32 v178, 0xbe8c1d8e, v84
	v_dual_fmamk_f32 v194, v132, 0xbf65296c, v192 :: v_dual_add_f32 v39, v39, v1
	v_mul_f32_e32 v189, 0xbf06c442, v109
	s_delay_alu instid0(VALU_DEP_4)
	v_fmamk_f32 v35, v42, 0xbf59a7d5, v166
	v_mul_f32_e32 v183, 0xbf59a7d5, v47
	v_mul_f32_e32 v191, 0x3f2c7751, v111
	;; [unrolled: 1-line block ×3, first 2 shown]
	v_fmac_f32_e32 v192, 0x3f65296c, v132
	v_dual_add_f32 v35, v35, v0 :: v_dual_mul_f32 v190, 0xbf1a4643, v57
	v_mul_f32_e32 v193, 0xbf4c4adb, v113
	v_dual_mul_f32 v196, 0x3f65296c, v124 :: v_dual_fmac_f32 v165, 0x3f65296c, v110
	s_delay_alu instid0(VALU_DEP_3)
	v_add_f32_e32 v35, v37, v35
	v_fmamk_f32 v37, v119, 0xbf4c4adb, v170
	v_mul_f32_e32 v169, 0xbf7ee86f, v109
	v_fma_f32 v166, 0xbf59a7d5, v42, -v166
	v_fma_f32 v167, 0x3ee437d1, v44, -v167
	v_add_f32_e32 v39, v165, v39
	v_add_f32_e32 v34, v37, v34
	v_dual_fmamk_f32 v36, v46, 0x3dbcf732, v169 :: v_dual_add_f32 v3, v3, v1
	s_delay_alu instid0(VALU_DEP_1) | instskip(NEXT) | instid1(VALU_DEP_2)
	v_dual_add_f32 v35, v36, v35 :: v_dual_fmamk_f32 v36, v125, 0x3eb8f4ab, v173
	v_add_f32_e32 v3, v25, v3
	s_delay_alu instid0(VALU_DEP_2) | instskip(SKIP_2) | instid1(VALU_DEP_4)
	v_dual_add_f32 v35, v174, v35 :: v_dual_add_f32 v34, v36, v34
	v_fmamk_f32 v36, v132, 0x3e3c28d5, v175
	v_mul_f32_e32 v174, 0xbe3c28d5, v124
	v_dual_mul_f32 v124, 0xbf2c7751, v124 :: v_dual_add_f32 v3, v27, v3
	s_delay_alu instid0(VALU_DEP_3) | instskip(NEXT) | instid1(VALU_DEP_2)
	v_add_f32_e32 v34, v36, v34
	v_dual_fmamk_f32 v36, v139, 0xbf2c7751, v176 :: v_dual_add_f32 v3, v17, v3
	s_delay_alu instid0(VALU_DEP_1)
	v_add_f32_e32 v34, v36, v34
	v_fmamk_f32 v36, v140, 0x3f763a35, v178
	v_mul_f32_e32 v172, 0xbeb8f4ab, v113
	v_dual_add_f32 v166, v166, v0 :: v_dual_fmac_f32 v173, 0xbeb8f4ab, v125
	v_mul_f32_e32 v113, 0x3f7ee86f, v113
	v_add_f32_e32 v3, v19, v3
	s_delay_alu instid0(VALU_DEP_4) | instskip(NEXT) | instid1(VALU_DEP_2)
	v_fmamk_f32 v37, v54, 0x3f6eb680, v172
	v_add_f32_e32 v3, v29, v3
	s_delay_alu instid0(VALU_DEP_2) | instskip(SKIP_1) | instid1(VALU_DEP_3)
	v_add_f32_e32 v35, v37, v35
	v_fmamk_f32 v37, v59, 0xbf7ba420, v174
	v_add_f32_e32 v3, v31, v3
	s_delay_alu instid0(VALU_DEP_2) | instskip(SKIP_2) | instid1(VALU_DEP_4)
	v_add_f32_e32 v35, v37, v35
	v_fmamk_f32 v37, v75, 0x3f3d2fb0, v177
	v_fmac_f32_e32 v176, 0x3f2c7751, v139
	v_dual_fmac_f32 v168, 0xbf7ee86f, v112 :: v_dual_add_f32 v3, v21, v3
	s_delay_alu instid0(VALU_DEP_3)
	v_add_f32_e32 v37, v37, v35
	v_add_f32_e32 v35, v36, v34
	;; [unrolled: 1-line block ×3, first 2 shown]
	v_fmamk_f32 v180, v110, 0xbeb8f4ab, v181
	v_fmac_f32_e32 v181, 0x3eb8f4ab, v110
	v_add_f32_e32 v39, v168, v39
	s_delay_alu instid0(VALU_DEP_3) | instskip(SKIP_4) | instid1(VALU_DEP_4)
	v_dual_add_f32 v3, v23, v3 :: v_dual_add_f32 v34, v180, v34
	v_fmamk_f32 v180, v112, 0x3f06c442, v183
	v_dual_add_f32 v166, v167, v166 :: v_dual_fmac_f32 v175, 0xbe3c28d5, v132
	v_fmac_f32_e32 v170, 0x3f4c4adb, v119
	v_fma_f32 v167, 0x3dbcf732, v46, -v169
	v_add_f32_e32 v34, v180, v34
	v_dual_fmamk_f32 v180, v119, 0xbf2c7751, v187 :: v_dual_add_f32 v13, v13, v3
	s_delay_alu instid0(VALU_DEP_4) | instskip(NEXT) | instid1(VALU_DEP_4)
	v_add_f32_e32 v168, v170, v39
	v_add_f32_e32 v166, v167, v166
	v_fma_f32 v167, 0xbf1a4643, v49, -v171
	s_delay_alu instid0(VALU_DEP_4)
	v_dual_mul_f32 v171, 0xbeb8f4ab, v112 :: v_dual_add_f32 v34, v180, v34
	v_fmamk_f32 v180, v125, 0x3f4c4adb, v190
	v_fmac_f32_e32 v190, 0xbf4c4adb, v125
	v_mul_f32_e32 v170, 0xbf4c4adb, v38
	v_add_f32_e32 v166, v167, v166
	v_fma_f32 v167, 0x3f6eb680, v54, -v172
	v_add_f32_e32 v180, v180, v34
	v_add_f32_e32 v34, v184, v37
	v_dual_mul_f32 v36, 0xbe3c28d5, v40 :: v_dual_fmac_f32 v179, 0xbe3c28d5, v38
	s_delay_alu instid0(VALU_DEP_3) | instskip(SKIP_1) | instid1(VALU_DEP_3)
	v_dual_mul_f32 v172, 0x3f763a35, v41 :: v_dual_add_f32 v37, v194, v180
	v_fmamk_f32 v180, v139, 0x3f763a35, v195
	v_fmamk_f32 v185, v42, 0xbf7ba420, v36
	v_fma_f32 v36, 0xbf7ba420, v42, -v36
	v_add_f32_e32 v179, v179, v1
	v_fmac_f32_e32 v195, 0xbf763a35, v139
	v_dual_add_f32 v37, v180, v37 :: v_dual_fmac_f32 v178, 0xbf763a35, v140
	s_delay_alu instid0(VALU_DEP_4)
	v_add_f32_e32 v36, v36, v0
	v_add_f32_e32 v185, v185, v0
	;; [unrolled: 1-line block ×3, first 2 shown]
	v_mul_f32_e32 v125, 0x3f7ee86f, v125
	v_mul_f32_e32 v139, 0xbe3c28d5, v139
	v_add_f32_e32 v13, v15, v13
	v_dual_add_f32 v185, v188, v185 :: v_dual_fmamk_f32 v188, v46, 0xbf59a7d5, v189
	s_delay_alu instid0(VALU_DEP_2) | instskip(SKIP_1) | instid1(VALU_DEP_3)
	v_add_f32_e32 v9, v9, v13
	v_fma_f32 v13, 0x3f6eb680, v47, -v171
	v_dual_add_f32 v185, v188, v185 :: v_dual_fmamk_f32 v188, v49, 0x3f3d2fb0, v191
	s_delay_alu instid0(VALU_DEP_3) | instskip(NEXT) | instid1(VALU_DEP_2)
	v_add_f32_e32 v9, v11, v9
	v_dual_add_f32 v185, v188, v185 :: v_dual_fmamk_f32 v188, v54, 0xbf1a4643, v193
	s_delay_alu instid0(VALU_DEP_2) | instskip(SKIP_1) | instid1(VALU_DEP_3)
	v_add_f32_e32 v5, v5, v9
	v_fma_f32 v9, 0x3dbcf732, v57, -v125
	v_dual_add_f32 v184, v188, v185 :: v_dual_fmamk_f32 v185, v59, 0x3ee437d1, v196
	v_mul_f32_e32 v188, 0xbf763a35, v129
	v_mul_f32_e32 v129, 0xbe3c28d5, v129
	s_delay_alu instid0(VALU_DEP_3) | instskip(SKIP_1) | instid1(VALU_DEP_4)
	v_dual_add_f32 v5, v7, v5 :: v_dual_add_f32 v180, v185, v184
	v_fma_f32 v185, 0x3f6eb680, v44, -v186
	v_fma_f32 v165, 0xbe8c1d8e, v75, -v188
	v_fmamk_f32 v184, v75, 0xbe8c1d8e, v188
	v_fma_f32 v181, 0xbf59a7d5, v46, -v189
	v_mul_f32_e32 v186, 0x3f7ee86f, v138
	s_delay_alu instid0(VALU_DEP_3) | instskip(SKIP_2) | instid1(VALU_DEP_1)
	v_add_f32_e32 v180, v184, v180
	v_mul_f32_e32 v184, 0x3dbcf732, v84
	v_dual_add_f32 v36, v185, v36 :: v_dual_fmac_f32 v187, 0x3f2c7751, v119
	v_dual_mul_f32 v119, 0xbf06c442, v119 :: v_dual_add_f32 v36, v181, v36
	v_fma_f32 v181, 0x3f3d2fb0, v49, -v191
	s_delay_alu instid0(VALU_DEP_2) | instskip(NEXT) | instid1(VALU_DEP_2)
	v_fma_f32 v11, 0xbf59a7d5, v50, -v119
	v_add_f32_e32 v181, v181, v36
	v_fmac_f32_e32 v183, 0xbf06c442, v112
	v_fma_f32 v112, 0x3f3d2fb0, v75, -v177
	s_delay_alu instid0(VALU_DEP_2) | instskip(NEXT) | instid1(VALU_DEP_1)
	v_add_f32_e32 v179, v183, v179
	v_add_f32_e32 v179, v187, v179
	s_delay_alu instid0(VALU_DEP_1) | instskip(NEXT) | instid1(VALU_DEP_1)
	v_add_f32_e32 v179, v190, v179
	v_add_f32_e32 v179, v192, v179
	s_delay_alu instid0(VALU_DEP_1) | instskip(SKIP_4) | instid1(VALU_DEP_3)
	v_add_f32_e32 v179, v195, v179
	v_fmamk_f32 v183, v82, 0x3dbcf732, v186
	v_fmamk_f32 v185, v140, 0xbf7ee86f, v184
	v_fma_f32 v169, 0x3dbcf732, v82, -v186
	v_fmac_f32_e32 v184, 0x3f7ee86f, v140
	v_dual_add_f32 v36, v183, v180 :: v_dual_add_f32 v37, v185, v37
	v_fma_f32 v185, 0xbf1a4643, v54, -v193
	s_delay_alu instid0(VALU_DEP_1) | instskip(SKIP_1) | instid1(VALU_DEP_1)
	v_dual_add_f32 v39, v184, v179 :: v_dual_add_f32 v180, v185, v181
	v_fma_f32 v181, 0x3ee437d1, v59, -v196
	v_add_f32_e32 v180, v181, v180
	s_delay_alu instid0(VALU_DEP_1) | instskip(NEXT) | instid1(VALU_DEP_1)
	v_add_f32_e32 v165, v165, v180
	v_dual_add_f32 v38, v169, v165 :: v_dual_mul_f32 v169, 0x3f763a35, v110
	v_add_f32_e32 v168, v173, v168
	v_fma_f32 v173, 0xbe8c1d8e, v44, -v172
	v_add_f32_e32 v110, v167, v166
	v_fma_f32 v166, 0xbf7ba420, v59, -v174
	s_delay_alu instid0(VALU_DEP_4) | instskip(SKIP_1) | instid1(VALU_DEP_2)
	v_dual_mul_f32 v174, 0xbeb8f4ab, v109 :: v_dual_add_f32 v165, v175, v168
	v_fma_f32 v15, 0xbe8c1d8e, v45, -v169
	v_dual_add_f32 v110, v166, v110 :: v_dual_add_f32 v165, v176, v165
	v_fmamk_f32 v168, v43, 0xbf1a4643, v170
	s_delay_alu instid0(VALU_DEP_2) | instskip(SKIP_1) | instid1(VALU_DEP_4)
	v_add_f32_e32 v110, v112, v110
	v_fmamk_f32 v112, v50, 0xbf59a7d5, v119
	v_add_f32_e32 v41, v178, v165
	s_delay_alu instid0(VALU_DEP_4) | instskip(NEXT) | instid1(VALU_DEP_1)
	v_dual_add_f32 v167, v168, v1 :: v_dual_fmamk_f32 v168, v45, 0xbe8c1d8e, v169
	v_dual_add_f32 v166, v168, v167 :: v_dual_fmamk_f32 v167, v47, 0x3f6eb680, v171
	v_mul_f32_e32 v168, 0xbf4c4adb, v40
	s_delay_alu instid0(VALU_DEP_2) | instskip(SKIP_1) | instid1(VALU_DEP_2)
	v_add_f32_e32 v40, v167, v166
	v_fma_f32 v166, 0xbe8c1d8e, v82, -v182
	v_add_f32_e32 v40, v112, v40
	v_fmamk_f32 v112, v57, 0x3dbcf732, v125
	s_delay_alu instid0(VALU_DEP_1) | instskip(SKIP_2) | instid1(VALU_DEP_1)
	v_dual_add_f32 v109, v112, v40 :: v_dual_add_f32 v40, v166, v110
	v_mul_f32_e32 v166, 0xbf06c442, v111
	v_mul_f32_e32 v111, 0xbe8c1d8e, v43
	v_add_f32_e32 v111, v160, v111
	s_delay_alu instid0(VALU_DEP_1) | instskip(SKIP_1) | instid1(VALU_DEP_1)
	v_add_f32_e32 v111, v111, v1
	v_fma_f32 v167, 0xbf1a4643, v42, -v168
	v_dual_fmac_f32 v168, 0xbf1a4643, v42 :: v_dual_add_f32 v167, v167, v0
	s_delay_alu instid0(VALU_DEP_1) | instskip(SKIP_1) | instid1(VALU_DEP_1)
	v_add_f32_e32 v165, v173, v167
	v_fma_f32 v167, 0x3f6eb680, v46, -v174
	v_add_f32_e32 v110, v167, v165
	v_mul_f32_e32 v167, 0xbf59a7d5, v45
	v_fmamk_f32 v165, v76, 0xbf7ba420, v139
	v_mul_f32_e32 v132, 0xbf2c7751, v132
	s_delay_alu instid0(VALU_DEP_3) | instskip(SKIP_1) | instid1(VALU_DEP_1)
	v_add_f32_e32 v160, v164, v167
	v_mul_f32_e32 v164, 0x3f3d2fb0, v47
	v_dual_add_f32 v111, v160, v111 :: v_dual_add_f32 v160, v161, v164
	v_mul_f32_e32 v161, 0x3ee437d1, v50
	s_delay_alu instid0(VALU_DEP_1) | instskip(SKIP_3) | instid1(VALU_DEP_4)
	v_dual_add_f32 v111, v160, v111 :: v_dual_add_f32 v160, v162, v161
	v_mul_f32_e32 v162, 0xbe8c1d8e, v42
	v_fmamk_f32 v112, v63, 0x3f3d2fb0, v132
	v_mul_f32_e32 v161, 0xbf7ba420, v57
	v_add_f32_e32 v111, v160, v111
	s_delay_alu instid0(VALU_DEP_4) | instskip(NEXT) | instid1(VALU_DEP_4)
	v_sub_f32_e32 v149, v162, v149
	v_add_f32_e32 v109, v112, v109
	v_fma_f32 v112, 0xbf59a7d5, v49, -v166
	v_dual_add_f32 v160, v163, v161 :: v_dual_mul_f32 v161, 0x3dbcf732, v63
	s_delay_alu instid0(VALU_DEP_4) | instskip(SKIP_1) | instid1(VALU_DEP_4)
	v_add_f32_e32 v149, v149, v0
	v_mul_f32_e32 v140, 0x3f65296c, v140
	v_add_f32_e32 v110, v112, v110
	v_fma_f32 v112, 0x3dbcf732, v54, -v113
	v_add_f32_e32 v109, v165, v109
	v_fmac_f32_e32 v113, 0x3dbcf732, v54
	s_delay_alu instid0(VALU_DEP_3) | instskip(SKIP_1) | instid1(VALU_DEP_1)
	v_add_f32_e32 v110, v112, v110
	v_fma_f32 v112, 0x3f3d2fb0, v59, -v124
	v_add_f32_e32 v110, v112, v110
	v_fma_f32 v112, 0xbf7ba420, v75, -v129
	s_delay_alu instid0(VALU_DEP_1) | instskip(SKIP_1) | instid1(VALU_DEP_1)
	v_dual_fmac_f32 v129, 0xbf7ba420, v75 :: v_dual_add_f32 v112, v112, v110
	v_fmamk_f32 v110, v84, 0x3ee437d1, v140
	v_dual_add_f32 v110, v110, v109 :: v_dual_add_f32 v109, v160, v111
	v_add_f32_e32 v111, v159, v161
	v_mul_f32_e32 v159, 0xbf59a7d5, v44
	v_dual_mul_f32 v161, 0x3f6eb680, v76 :: v_dual_fmac_f32 v174, 0x3f6eb680, v46
	s_delay_alu instid0(VALU_DEP_3) | instskip(NEXT) | instid1(VALU_DEP_3)
	v_add_f32_e32 v111, v111, v109
	v_dual_sub_f32 v156, v159, v156 :: v_dual_mul_f32 v159, 0x3f3d2fb0, v46
	s_delay_alu instid0(VALU_DEP_3) | instskip(NEXT) | instid1(VALU_DEP_2)
	v_add_f32_e32 v158, v158, v161
	v_dual_fmac_f32 v124, 0x3f3d2fb0, v59 :: v_dual_add_f32 v149, v156, v149
	s_delay_alu instid0(VALU_DEP_3) | instskip(NEXT) | instid1(VALU_DEP_3)
	v_sub_f32_e32 v155, v159, v155
	v_dual_add_f32 v111, v158, v111 :: v_dual_mul_f32 v138, 0x3f65296c, v138
	s_delay_alu instid0(VALU_DEP_2) | instskip(NEXT) | instid1(VALU_DEP_2)
	v_dual_add_f32 v149, v155, v149 :: v_dual_mul_f32 v156, 0x3dbcf732, v43
	v_fma_f32 v160, 0x3ee437d1, v82, -v138
	v_mul_f32_e32 v155, 0xbf7ba420, v45
	s_delay_alu instid0(VALU_DEP_3) | instskip(NEXT) | instid1(VALU_DEP_3)
	v_add_f32_e32 v141, v141, v156
	v_add_f32_e32 v109, v160, v112
	v_mul_f32_e32 v112, 0xbf1a4643, v84
	s_delay_alu instid0(VALU_DEP_4) | instskip(SKIP_2) | instid1(VALU_DEP_4)
	v_add_f32_e32 v142, v142, v155
	v_mul_f32_e32 v155, 0x3f6eb680, v43
	v_dual_add_f32 v141, v141, v1 :: v_dual_fmac_f32 v138, 0x3ee437d1, v82
	v_dual_add_f32 v112, v157, v112 :: v_dual_mul_f32 v157, 0x3ee437d1, v49
	s_delay_alu instid0(VALU_DEP_2) | instskip(NEXT) | instid1(VALU_DEP_2)
	v_dual_add_f32 v141, v142, v141 :: v_dual_mul_f32 v142, 0x3dbcf732, v59
	v_sub_f32_e32 v154, v157, v154
	v_mul_f32_e32 v157, 0xbf7ba420, v54
	s_delay_alu instid0(VALU_DEP_2) | instskip(NEXT) | instid1(VALU_DEP_2)
	v_dual_mul_f32 v156, 0x3f6eb680, v42 :: v_dual_add_f32 v149, v154, v149
	v_dual_sub_f32 v153, v157, v153 :: v_dual_mul_f32 v154, 0xbe8c1d8e, v47
	s_delay_alu instid0(VALU_DEP_2) | instskip(NEXT) | instid1(VALU_DEP_2)
	v_dual_mul_f32 v157, 0x3f3d2fb0, v42 :: v_dual_sub_f32 v48, v156, v48
	v_add_f32_e32 v149, v153, v149
	s_delay_alu instid0(VALU_DEP_3) | instskip(NEXT) | instid1(VALU_DEP_3)
	v_add_f32_e32 v143, v143, v154
	v_dual_sub_f32 v58, v157, v58 :: v_dual_mul_f32 v157, 0xbf7ba420, v84
	s_delay_alu instid0(VALU_DEP_2) | instskip(NEXT) | instid1(VALU_DEP_2)
	v_dual_add_f32 v48, v48, v0 :: v_dual_add_f32 v141, v143, v141
	v_dual_mul_f32 v143, 0x3f6eb680, v75 :: v_dual_add_f32 v158, v58, v0
	s_delay_alu instid0(VALU_DEP_1) | instskip(SKIP_3) | instid1(VALU_DEP_3)
	v_sub_f32_e32 v143, v143, v151
	v_mul_f32_e32 v151, 0x3dbcf732, v42
	v_dual_mul_f32 v153, 0x3f6eb680, v50 :: v_dual_sub_f32 v142, v142, v152
	v_mul_f32_e32 v152, 0x3ee437d1, v42
	v_sub_f32_e32 v134, v151, v134
	s_delay_alu instid0(VALU_DEP_3) | instskip(SKIP_3) | instid1(VALU_DEP_4)
	v_dual_add_f32 v144, v144, v153 :: v_dual_mul_f32 v153, 0x3ee437d1, v43
	v_mul_f32_e32 v154, 0x3f3d2fb0, v43
	v_add_f32_e32 v142, v142, v149
	v_mul_f32_e32 v151, 0xbf1a4643, v45
	v_dual_add_f32 v141, v144, v141 :: v_dual_mul_f32 v144, 0xbf1a4643, v82
	v_dual_mul_f32 v149, 0x3ee437d1, v57 :: v_dual_add_f32 v134, v134, v0
	v_add_f32_e32 v116, v116, v153
	s_delay_alu instid0(VALU_DEP_4) | instskip(NEXT) | instid1(VALU_DEP_3)
	v_dual_add_f32 v118, v118, v151 :: v_dual_mul_f32 v151, 0xbf7ba420, v46
	v_dual_add_f32 v146, v146, v149 :: v_dual_mul_f32 v149, 0x3f3d2fb0, v44
	;; [unrolled: 1-line block ×3, first 2 shown]
	s_delay_alu instid0(VALU_DEP_2) | instskip(SKIP_1) | instid1(VALU_DEP_3)
	v_dual_sub_f32 v144, v144, v150 :: v_dual_add_f32 v141, v146, v141
	v_mul_f32_e32 v150, 0x3f3d2fb0, v45
	v_dual_add_f32 v116, v116, v1 :: v_dual_add_f32 v143, v147, v143
	v_add_f32_e32 v112, v112, v111
	s_delay_alu instid0(VALU_DEP_4) | instskip(NEXT) | instid1(VALU_DEP_3)
	v_dual_add_f32 v111, v144, v142 :: v_dual_mul_f32 v142, 0xbf1a4643, v44
	v_dual_mul_f32 v144, 0xbf1a4643, v76 :: v_dual_add_f32 v141, v143, v141
	v_mul_f32_e32 v143, 0xbf7ba420, v44
	v_add_f32_e32 v116, v118, v116
	v_mul_f32_e32 v118, 0x3ee437d1, v54
	s_delay_alu instid0(VALU_DEP_4) | instskip(NEXT) | instid1(VALU_DEP_4)
	v_dual_add_f32 v144, v145, v144 :: v_dual_sub_f32 v81, v152, v81
	v_dual_sub_f32 v136, v143, v136 :: v_dual_mul_f32 v143, 0x3ee437d1, v46
	s_delay_alu instid0(VALU_DEP_2) | instskip(NEXT) | instid1(VALU_DEP_2)
	v_dual_sub_f32 v118, v118, v131 :: v_dual_add_f32 v141, v144, v141
	v_dual_mul_f32 v145, 0x3f3d2fb0, v84 :: v_dual_add_f32 v134, v136, v134
	v_mul_f32_e32 v131, 0xbf7ba420, v49
	v_add_f32_e32 v81, v81, v0
	v_dual_mul_f32 v146, 0x3dbcf732, v44 :: v_dual_mul_f32 v147, 0x3dbcf732, v45
	s_delay_alu instid0(VALU_DEP_4) | instskip(SKIP_2) | instid1(VALU_DEP_3)
	v_dual_add_f32 v145, v148, v145 :: v_dual_mul_f32 v148, 0xbe8c1d8e, v46
	v_add_f32_e32 v73, v73, v154
	v_dual_mul_f32 v136, 0xbf1a4643, v46 :: v_dual_mul_f32 v153, 0xbf1a4643, v47
	v_dual_add_f32 v79, v79, v147 :: v_dual_sub_f32 v128, v148, v128
	v_mul_f32_e32 v148, 0x3f6eb680, v49
	s_delay_alu instid0(VALU_DEP_4) | instskip(NEXT) | instid1(VALU_DEP_4)
	v_add_f32_e32 v73, v73, v1
	v_dual_add_f32 v83, v83, v153 :: v_dual_sub_f32 v88, v142, v88
	s_delay_alu instid0(VALU_DEP_4) | instskip(NEXT) | instid1(VALU_DEP_4)
	v_add_f32_e32 v128, v128, v134
	v_sub_f32_e32 v130, v148, v130
	v_mul_f32_e32 v148, 0x3dbcf732, v49
	v_add_f32_e32 v73, v79, v73
	v_mul_f32_e32 v147, 0x3ee437d1, v75
	s_delay_alu instid0(VALU_DEP_4) | instskip(NEXT) | instid1(VALU_DEP_3)
	v_dual_mul_f32 v79, 0xbf7ba420, v82 :: v_dual_add_f32 v128, v130, v128
	v_dual_mul_f32 v130, 0xbe8c1d8e, v50 :: v_dual_add_f32 v73, v83, v73
	v_mul_f32_e32 v83, 0xbf59a7d5, v82
	s_delay_alu instid0(VALU_DEP_3) | instskip(SKIP_1) | instid1(VALU_DEP_4)
	v_dual_add_f32 v81, v88, v81 :: v_dual_add_f32 v118, v118, v128
	v_mul_f32_e32 v134, 0xbf7ba420, v47
	v_dual_mul_f32 v144, 0x3ee437d1, v47 :: v_dual_add_f32 v115, v115, v130
	v_mul_f32_e32 v128, 0x3f3d2fb0, v57
	v_mul_f32_e32 v130, 0xbf7ba420, v50
	s_delay_alu instid0(VALU_DEP_4) | instskip(SKIP_2) | instid1(VALU_DEP_4)
	v_add_f32_e32 v117, v117, v134
	v_mul_f32_e32 v134, 0x3dbcf732, v50
	v_mul_f32_e32 v152, 0xbf1a4643, v59
	v_dual_add_f32 v114, v114, v128 :: v_dual_add_f32 v89, v89, v130
	s_delay_alu instid0(VALU_DEP_4) | instskip(SKIP_2) | instid1(VALU_DEP_3)
	v_dual_add_f32 v116, v117, v116 :: v_dual_mul_f32 v117, 0xbf59a7d5, v59
	v_mul_f32_e32 v153, 0x3f6eb680, v82
	v_dual_sub_f32 v74, v146, v74 :: v_dual_sub_f32 v83, v83, v107
	v_add_f32_e32 v115, v115, v116
	s_delay_alu instid0(VALU_DEP_4) | instskip(SKIP_1) | instid1(VALU_DEP_3)
	v_dual_sub_f32 v117, v117, v133 :: v_dual_mul_f32 v116, 0xbf1a4643, v75
	v_dual_add_f32 v73, v89, v73 :: v_dual_sub_f32 v92, v151, v92
	v_dual_add_f32 v114, v114, v115 :: v_dual_mul_f32 v115, 0x3f3d2fb0, v82
	s_delay_alu instid0(VALU_DEP_3) | instskip(SKIP_1) | instid1(VALU_DEP_3)
	v_dual_sub_f32 v116, v116, v135 :: v_dual_mul_f32 v151, 0xbf59a7d5, v76
	v_dual_mul_f32 v133, 0xbe8c1d8e, v49 :: v_dual_add_f32 v74, v74, v158
	v_sub_f32_e32 v115, v115, v137
	v_mul_f32_e32 v137, 0x3dbcf732, v76
	v_dual_sub_f32 v80, v136, v80 :: v_dual_add_f32 v53, v53, v150
	v_dual_mul_f32 v135, 0xbe8c1d8e, v57 :: v_dual_add_f32 v2, v2, v0
	s_delay_alu instid0(VALU_DEP_3) | instskip(SKIP_1) | instid1(VALU_DEP_3)
	v_dual_add_f32 v126, v126, v137 :: v_dual_mul_f32 v137, 0xbf59a7d5, v84
	v_sub_f32_e32 v27, v143, v55
	v_dual_add_f32 v19, v78, v135 :: v_dual_add_f32 v2, v24, v2
	s_delay_alu instid0(VALU_DEP_3) | instskip(SKIP_2) | instid1(VALU_DEP_1)
	v_add_f32_e32 v127, v127, v137
	v_mul_f32_e32 v137, 0xbe8c1d8e, v63
	v_dual_add_f32 v117, v117, v118 :: v_dual_mul_f32 v118, 0x3f6eb680, v63
	v_add_f32_e32 v116, v116, v117
	s_delay_alu instid0(VALU_DEP_2) | instskip(SKIP_1) | instid1(VALU_DEP_2)
	v_add_f32_e32 v118, v120, v118
	v_dual_mul_f32 v120, 0xbf59a7d5, v54 :: v_dual_mul_f32 v117, 0xbf59a7d5, v57
	v_add_f32_e32 v114, v118, v114
	s_delay_alu instid0(VALU_DEP_2) | instskip(NEXT) | instid1(VALU_DEP_2)
	v_dual_mul_f32 v118, 0x3f3d2fb0, v54 :: v_dual_add_f32 v89, v94, v117
	v_add_f32_e32 v114, v126, v114
	s_delay_alu instid0(VALU_DEP_2)
	v_dual_mul_f32 v126, 0xbe8c1d8e, v59 :: v_dual_add_f32 v73, v89, v73
	v_dual_mul_f32 v128, 0xbe8c1d8e, v54 :: v_dual_add_f32 v81, v92, v81
	v_sub_f32_e32 v96, v133, v96
	v_mul_f32_e32 v142, 0xbf1a4643, v63
	v_mul_f32_e32 v133, 0x3dbcf732, v75
	v_dual_sub_f32 v89, v147, v101 :: v_dual_add_f32 v74, v80, v74
	s_delay_alu instid0(VALU_DEP_4) | instskip(SKIP_3) | instid1(VALU_DEP_4)
	v_dual_add_f32 v81, v96, v81 :: v_dual_sub_f32 v96, v118, v98
	v_mul_f32_e32 v88, 0x3f6eb680, v59
	v_sub_f32_e32 v80, v131, v87
	v_mul_f32_e32 v146, 0x3f6eb680, v84
	v_dual_sub_f32 v52, v149, v52 :: v_dual_add_f32 v81, v96, v81
	s_delay_alu instid0(VALU_DEP_4)
	v_dual_mul_f32 v154, 0xbf59a7d5, v75 :: v_dual_sub_f32 v87, v88, v102
	v_mul_f32_e32 v92, 0x3ee437d1, v76
	v_add_f32_e32 v88, v100, v137
	v_add_f32_e32 v74, v80, v74
	v_sub_f32_e32 v80, v120, v93
	v_add_f32_e32 v81, v87, v81
	v_sub_f32_e32 v87, v133, v106
	v_dual_add_f32 v73, v88, v73 :: v_dual_add_f32 v88, v103, v92
	v_add_f32_e32 v92, v51, v155
	s_delay_alu instid0(VALU_DEP_3) | instskip(SKIP_1) | instid1(VALU_DEP_4)
	v_dual_add_f32 v74, v80, v74 :: v_dual_add_f32 v81, v87, v81
	v_sub_f32_e32 v80, v126, v97
	v_add_f32_e32 v87, v88, v73
	v_add_f32_e32 v48, v52, v48
	v_dual_fmac_f32 v166, 0xbf59a7d5, v49 :: v_dual_add_f32 v57, v115, v116
	v_add_f32_e32 v73, v83, v81
	v_add_f32_e32 v81, v92, v1
	v_sub_f32_e32 v83, v153, v104
	s_delay_alu instid0(VALU_DEP_2) | instskip(SKIP_3) | instid1(VALU_DEP_3)
	v_add_f32_e32 v25, v53, v81
	v_add_f32_e32 v53, v56, v144
	;; [unrolled: 1-line block ×5, first 2 shown]
	s_delay_alu instid0(VALU_DEP_3) | instskip(NEXT) | instid1(VALU_DEP_1)
	v_dual_add_f32 v80, v89, v80 :: v_dual_add_f32 v25, v72, v134
	v_add_f32_e32 v50, v83, v80
	s_delay_alu instid0(VALU_DEP_2) | instskip(NEXT) | instid1(VALU_DEP_1)
	v_add_f32_e32 v24, v25, v24
	v_dual_add_f32 v19, v19, v24 :: v_dual_add_f32 v2, v26, v2
	v_sub_f32_e32 v26, v148, v62
	s_delay_alu instid0(VALU_DEP_2) | instskip(NEXT) | instid1(VALU_DEP_1)
	v_add_f32_e32 v2, v16, v2
	v_add_f32_e32 v2, v18, v2
	;; [unrolled: 1-line block ×3, first 2 shown]
	s_delay_alu instid0(VALU_DEP_2) | instskip(NEXT) | instid1(VALU_DEP_2)
	v_add_f32_e32 v2, v28, v2
	v_add_f32_e32 v18, v18, v19
	v_dual_add_f32 v19, v91, v151 :: v_dual_add_f32 v88, v105, v146
	v_dual_add_f32 v17, v27, v48 :: v_dual_add_f32 v58, v145, v141
	s_delay_alu instid0(VALU_DEP_2) | instskip(SKIP_1) | instid1(VALU_DEP_3)
	v_add_f32_e32 v18, v19, v18
	v_add_f32_e32 v19, v99, v157
	v_add_f32_e32 v16, v26, v17
	v_sub_f32_e32 v17, v128, v77
	v_add_f32_e32 v51, v88, v87
	s_delay_alu instid0(VALU_DEP_4) | instskip(SKIP_1) | instid1(VALU_DEP_4)
	v_add_f32_e32 v3, v19, v18
	v_fma_f32 v19, 0xbf1a4643, v43, -v170
	v_dual_add_f32 v16, v17, v16 :: v_dual_sub_f32 v17, v152, v85
	s_delay_alu instid0(VALU_DEP_1) | instskip(SKIP_1) | instid1(VALU_DEP_2)
	v_dual_add_f32 v1, v19, v1 :: v_dual_add_f32 v16, v17, v16
	v_sub_f32_e32 v17, v154, v90
	v_dual_add_f32 v1, v15, v1 :: v_dual_add_f32 v2, v30, v2
	s_delay_alu instid0(VALU_DEP_2) | instskip(NEXT) | instid1(VALU_DEP_2)
	v_dual_add_f32 v16, v17, v16 :: v_dual_sub_f32 v17, v79, v95
	v_dual_add_f32 v1, v13, v1 :: v_dual_add_f32 v2, v20, v2
	s_delay_alu instid0(VALU_DEP_1) | instskip(NEXT) | instid1(VALU_DEP_3)
	v_dual_add_f32 v1, v11, v1 :: v_dual_add_f32 v18, v22, v2
	v_add_f32_e32 v2, v17, v16
	s_delay_alu instid0(VALU_DEP_2) | instskip(NEXT) | instid1(VALU_DEP_1)
	v_dual_add_f32 v7, v9, v1 :: v_dual_add_f32 v12, v12, v18
	v_dual_add_f32 v1, v33, v5 :: v_dual_add_f32 v12, v14, v12
	s_delay_alu instid0(VALU_DEP_1) | instskip(NEXT) | instid1(VALU_DEP_1)
	v_add_f32_e32 v8, v8, v12
	v_add_f32_e32 v8, v10, v8
	s_delay_alu instid0(VALU_DEP_1) | instskip(SKIP_2) | instid1(VALU_DEP_2)
	v_add_f32_e32 v4, v4, v8
	v_fma_f32 v8, 0x3f3d2fb0, v63, -v132
	v_fmac_f32_e32 v172, 0xbe8c1d8e, v44
	v_dual_add_f32 v4, v6, v4 :: v_dual_add_f32 v5, v8, v7
	v_fma_f32 v7, 0xbf7ba420, v76, -v139
	v_add_f32_e32 v0, v168, v0
	v_mul_lo_u16 v6, v123, 17
	s_delay_alu instid0(VALU_DEP_2) | instskip(NEXT) | instid1(VALU_DEP_1)
	v_dual_add_f32 v5, v7, v5 :: v_dual_add_f32 v0, v172, v0
	v_add_f32_e32 v0, v174, v0
	s_delay_alu instid0(VALU_DEP_1) | instskip(NEXT) | instid1(VALU_DEP_1)
	v_add_f32_e32 v0, v166, v0
	v_add_f32_e32 v0, v113, v0
	s_delay_alu instid0(VALU_DEP_1) | instskip(SKIP_3) | instid1(VALU_DEP_4)
	v_add_f32_e32 v8, v124, v0
	v_add_f32_e32 v0, v32, v4
	v_and_b32_e32 v4, 0xffff, v6
	v_fma_f32 v6, 0x3ee437d1, v84, -v140
	v_add_f32_e32 v7, v129, v8
	s_delay_alu instid0(VALU_DEP_2) | instskip(NEXT) | instid1(VALU_DEP_2)
	v_dual_add_f32 v5, v6, v5 :: v_dual_lshlrev_b32 v8, 3, v4
	v_add_f32_e32 v4, v138, v7
	ds_store_2addr_b64 v8, v[0:1], v[2:3] offset1:1
	ds_store_2addr_b64 v8, v[50:51], v[73:74] offset0:2 offset1:3
	ds_store_2addr_b64 v8, v[57:58], v[111:112] offset0:4 offset1:5
	;; [unrolled: 1-line block ×7, first 2 shown]
	ds_store_b64 v8, v[60:61] offset:128
.LBB0_7:
	s_wait_alu 0xfffe
	s_or_b32 exec_lo, exec_lo, s0
	v_and_b32_e32 v5, 0xff, v123
	v_add_co_u32 v0, null, 0xaa, v123
	v_add_co_u32 v14, null, 0x154, v123
	s_delay_alu instid0(VALU_DEP_3) | instskip(NEXT) | instid1(VALU_DEP_3)
	v_mul_lo_u16 v1, 0xf1, v5
	v_and_b32_e32 v2, 0xffff, v0
	s_load_b128 s[4:7], s[4:5], 0x0
	global_wb scope:SCOPE_SE
	s_wait_dscnt 0x0
	s_wait_kmcnt 0x0
	s_barrier_signal -1
	v_lshrrev_b16 v15, 12, v1
	v_mul_u32_u24_e32 v40, 0xf0f1, v2
	v_and_b32_e32 v1, 0xffff, v14
	s_barrier_wait -1
	global_inv scope:SCOPE_SE
	v_mul_lo_u16 v2, v15, 17
	v_lshrrev_b32_e32 v41, 20, v40
	v_mul_u32_u24_e32 v42, 0xf0f1, v1
	v_add_co_u32 v47, null, 0x1fe, v123
	s_delay_alu instid0(VALU_DEP_4) | instskip(NEXT) | instid1(VALU_DEP_4)
	v_sub_nc_u16 v1, v123, v2
	v_mul_lo_u16 v2, v41, 17
	s_delay_alu instid0(VALU_DEP_4)
	v_lshrrev_b32_e32 v43, 20, v42
	v_mul_lo_u16 v6, 0x79, v5
	v_lshrrev_b32_e32 v56, 22, v42
	v_and_b32_e32 v44, 0xff, v1
	v_sub_nc_u16 v45, v0, v2
	v_mul_lo_u16 v3, v43, 17
	v_lshrrev_b16 v51, 13, v6
	v_lshrrev_b32_e32 v55, 22, v40
	v_mad_co_u64_u32 v[1:2], null, v44, 24, s[2:3]
	v_mul_lo_u16 v4, v45, 24
	v_sub_nc_u16 v46, v14, v3
	v_mul_lo_u16 v54, 0x44, v51
	v_mul_lo_u16 v42, 0x44, v55
	s_clause 0x1
	global_load_b64 v[115:116], v[1:2], off offset:16
	global_load_b128 v[24:27], v[1:2], off
	v_and_b32_e32 v3, 0xffff, v4
	v_mul_lo_u16 v4, v46, 24
	v_and_b32_e32 v7, 0xffff, v47
	v_sub_nc_u16 v40, v123, v54
	v_mul_lo_u16 v54, 0x44, v56
	v_add_co_u32 v1, s0, s2, v3
	v_and_b32_e32 v3, 0xffff, v4
	s_wait_alu 0xf1ff
	v_add_co_ci_u32_e64 v2, null, s3, 0, s0
	v_mul_u32_u24_e32 v53, 0xf0f1, v7
	v_sub_nc_u16 v54, v14, v54
	v_add_co_u32 v3, s0, s2, v3
	s_wait_alu 0xf1ff
	v_add_co_ci_u32_e64 v4, null, s3, 0, s0
	s_clause 0x3
	global_load_b128 v[20:23], v[1:2], off
	global_load_b64 v[113:114], v[1:2], off offset:16
	global_load_b128 v[16:19], v[3:4], off
	global_load_b64 v[111:112], v[3:4], off offset:16
	v_and_b32_e32 v1, 0xffff, v123
	v_lshrrev_b32_e32 v53, 22, v53
	v_sub_nc_u16 v59, v0, v42
	v_lshlrev_b16 v42, 4, v54
	v_mad_u16 v14, 0x44, v41, v45
	v_lshlrev_b32_e32 v124, 3, v1
	v_mul_lo_u16 v57, 0x44, v53
	v_lshlrev_b16 v41, 4, v59
	s_delay_alu instid0(VALU_DEP_3)
	v_add_nc_u32_e32 v52, 0x800, v124
	v_add_nc_u32_e32 v1, 0x1e00, v124
	;; [unrolled: 1-line block ×5, first 2 shown]
	ds_load_2addr_b64 v[2:5], v124 offset1:170
	ds_load_2addr_b64 v[6:9], v52 offset0:84 offset1:254
	ds_load_2addr_b64 v[10:13], v1 offset0:60 offset1:230
	;; [unrolled: 1-line block ×5, first 2 shown]
	v_and_b32_e32 v15, 0xffff, v15
	v_sub_nc_u16 v47, v47, v57
	v_and_b32_e32 v14, 0xffff, v14
	v_and_b32_e32 v41, 0xffff, v41
	;; [unrolled: 1-line block ×3, first 2 shown]
	global_wb scope:SCOPE_SE
	s_wait_loadcnt_dscnt 0x0
	s_barrier_signal -1
	s_barrier_wait -1
	global_inv scope:SCOPE_SE
	v_mul_f32_e32 v62, v30, v116
	v_mul_f32_e32 v57, v31, v116
	v_add_nc_u32_e32 v134, 0xc00, v124
	v_add_nc_u32_e32 v132, 0x2600, v124
	s_delay_alu instid0(VALU_DEP_4)
	v_fmac_f32_e32 v62, v31, v115
	v_mul_f32_e32 v31, v13, v23
	v_dual_mul_f32 v73, v29, v19 :: v_dual_mul_f32 v76, v38, v112
	v_mul_u32_u24_e32 v15, 0x44, v15
	v_dual_mul_f32 v74, v28, v19 :: v_dual_lshlrev_b32 v127, 3, v14
	v_add_co_u32 v14, s0, s2, v41
	s_delay_alu instid0(VALU_DEP_3)
	v_add_lshl_u32 v126, v15, v44, 3
	v_mad_u16 v15, 0x44, v43, v46
	v_lshlrev_b16 v43, 4, v47
	v_dual_mul_f32 v75, v39, v112 :: v_dual_and_b32 v44, 0xffff, v42
	v_mul_f32_e32 v42, v8, v25
	v_dual_mul_f32 v46, v10, v27 :: v_dual_mul_f32 v41, v9, v25
	v_mul_f32_e32 v63, v35, v17
	v_mul_f32_e32 v72, v34, v17
	s_delay_alu instid0(VALU_DEP_4) | instskip(SKIP_4) | instid1(VALU_DEP_4)
	v_dual_fmac_f32 v42, v9, v24 :: v_dual_and_b32 v45, 0xffff, v43
	v_mul_f32_e32 v43, v11, v27
	v_dual_fmac_f32 v46, v11, v26 :: v_dual_mul_f32 v11, v33, v21
	v_fma_f32 v8, v8, v24, -v41
	v_mul_f32_e32 v41, v12, v23
	v_fma_f32 v9, v10, v26, -v43
	v_mul_f32_e32 v43, v37, v114
	;; [unrolled: 2-line block ×3, first 2 shown]
	v_dual_mul_f32 v57, v36, v114 :: v_dual_fmac_f32 v76, v39, v111
	v_fma_f32 v32, v32, v20, -v11
	v_fma_f32 v11, v12, v22, -v31
	;; [unrolled: 1-line block ×3, first 2 shown]
	v_lshlrev_b32_e32 v40, 4, v58
	v_dual_sub_f32 v46, v3, v46 :: v_dual_and_b32 v15, 0xffff, v15
	v_dual_sub_f32 v77, v2, v9 :: v_dual_fmac_f32 v74, v29, v18
	v_fmac_f32_e32 v30, v33, v20
	v_dual_fmac_f32 v41, v13, v22 :: v_dual_sub_f32 v12, v32, v12
	v_sub_f32_e32 v9, v8, v10
	v_fma_f32 v28, v28, v18, -v73
	v_fmac_f32_e32 v57, v37, v113
	v_dual_fmac_f32 v72, v35, v16 :: v_dual_lshlrev_b32 v125, 3, v15
	v_sub_f32_e32 v10, v42, v62
	v_fma_f32 v13, v34, v16, -v63
	v_fma_f32 v29, v38, v111, -v75
	v_fma_f32 v31, v2, 2.0, -v77
	v_dual_sub_f32 v35, v4, v11 :: v_dual_sub_f32 v36, v5, v41
	v_fma_f32 v8, v8, 2.0, -v9
	v_sub_f32_e32 v38, v6, v28
	v_sub_f32_e32 v28, v13, v29
	;; [unrolled: 1-line block ×3, first 2 shown]
	v_fma_f32 v33, v3, 2.0, -v46
	v_sub_f32_e32 v8, v31, v8
	v_fma_f32 v34, v42, 2.0, -v10
	v_dual_sub_f32 v2, v77, v10 :: v_dual_add_f32 v3, v46, v9
	v_sub_f32_e32 v29, v72, v76
	v_fma_f32 v41, v4, 2.0, -v35
	v_sub_f32_e32 v4, v35, v37
	v_sub_f32_e32 v39, v7, v74
	v_fma_f32 v42, v5, 2.0, -v36
	v_fma_f32 v32, v32, 2.0, -v12
	;; [unrolled: 1-line block ×3, first 2 shown]
	v_sub_f32_e32 v9, v33, v34
	v_fma_f32 v11, v46, 2.0, -v3
	v_fma_f32 v43, v6, 2.0, -v38
	;; [unrolled: 1-line block ×4, first 2 shown]
	v_sub_f32_e32 v6, v38, v29
	v_fma_f32 v46, v7, 2.0, -v39
	v_add_f32_e32 v5, v36, v12
	v_add_f32_e32 v7, v39, v28
	v_dual_sub_f32 v28, v41, v32 :: v_dual_sub_f32 v29, v42, v30
	v_fma_f32 v13, v33, 2.0, -v9
	v_dual_sub_f32 v32, v43, v34 :: v_dual_sub_f32 v33, v46, v37
	s_wait_alu 0xf1ff
	v_add_co_ci_u32_e64 v15, null, s3, 0, s0
	v_fma_f32 v10, v77, 2.0, -v2
	v_fma_f32 v12, v31, 2.0, -v8
	;; [unrolled: 1-line block ×10, first 2 shown]
	ds_store_2addr_b64 v126, v[8:9], v[2:3] offset0:34 offset1:51
	ds_store_2addr_b64 v126, v[12:13], v[10:11] offset1:17
	ds_store_2addr_b64 v127, v[28:29], v[4:5] offset0:34 offset1:51
	ds_store_2addr_b64 v127, v[36:37], v[30:31] offset1:17
	ds_store_2addr_b64 v125, v[38:39], v[34:35] offset1:17
	ds_store_2addr_b64 v125, v[32:33], v[6:7] offset0:34 offset1:51
	global_wb scope:SCOPE_SE
	s_wait_dscnt 0x0
	s_barrier_signal -1
	s_barrier_wait -1
	global_inv scope:SCOPE_SE
	s_clause 0x1
	global_load_b128 v[40:43], v40, s[2:3] offset:408
	global_load_b128 v[36:39], v[14:15], off offset:408
	v_add_co_u32 v2, s0, s2, v44
	s_wait_alu 0xf1ff
	v_add_co_ci_u32_e64 v3, null, s3, 0, s0
	v_add_co_u32 v4, s0, s2, v45
	s_wait_alu 0xf1ff
	v_add_co_ci_u32_e64 v5, null, s3, 0, s0
	s_clause 0x1
	global_load_b128 v[32:35], v[2:3], off offset:408
	global_load_b128 v[28:31], v[4:5], off offset:408
	ds_load_2addr_b64 v[2:5], v49 offset0:40 offset1:210
	ds_load_2addr_b64 v[6:9], v48 offset0:80 offset1:250
	v_and_b32_e32 v10, 0xffff, v51
	v_mad_u16 v11, 0xcc, v55, v59
	v_mad_u16 v12, 0xcc, v56, v54
	;; [unrolled: 1-line block ×3, first 2 shown]
	ds_load_2addr_b64 v[44:47], v50 offset0:36 offset1:206
	v_mul_u32_u24_e32 v14, 0xcc, v10
	v_and_b32_e32 v15, 0xffff, v11
	v_and_b32_e32 v48, 0xffff, v12
	;; [unrolled: 1-line block ×3, first 2 shown]
	ds_load_2addr_b64 v[10:13], v1 offset0:60 offset1:230
	v_add_nc_u32_e32 v133, 0x1800, v124
	v_add_nc_u32_e32 v135, 0x3200, v124
	v_add_lshl_u32 v131, v14, v58, 3
	v_cmp_gt_u16_e64 s0, 34, v123
	s_wait_loadcnt_dscnt 0x303
	v_mul_f32_e32 v14, v3, v41
	s_wait_loadcnt 0x2
	v_mul_f32_e32 v54, v5, v37
	v_dual_mul_f32 v55, v4, v37 :: v_dual_lshlrev_b32 v130, 3, v15
	v_mul_f32_e32 v15, v2, v41
	s_wait_dscnt 0x2
	v_dual_mul_f32 v56, v9, v39 :: v_dual_lshlrev_b32 v129, 3, v48
	v_dual_mul_f32 v53, v6, v43 :: v_dual_lshlrev_b32 v128, 3, v49
	ds_load_2addr_b64 v[48:51], v124 offset1:170
	ds_load_2addr_b64 v[72:75], v52 offset0:84 offset1:254
	v_mul_f32_e32 v52, v7, v43
	s_wait_loadcnt_dscnt 0x102
	v_mul_f32_e32 v58, v11, v33
	v_fma_f32 v2, v2, v40, -v14
	v_fmac_f32_e32 v15, v3, v40
	v_fma_f32 v4, v4, v36, -v54
	v_fma_f32 v3, v6, v42, -v52
	s_wait_loadcnt 0x0
	v_dual_mul_f32 v57, v8, v39 :: v_dual_mul_f32 v76, v13, v29
	v_dual_mul_f32 v59, v10, v33 :: v_dual_mul_f32 v62, v45, v35
	v_fmac_f32_e32 v53, v7, v42
	v_fma_f32 v6, v8, v38, -v56
	v_fmac_f32_e32 v55, v5, v36
	v_fma_f32 v5, v10, v32, -v58
	v_dual_add_f32 v10, v2, v3 :: v_dual_mul_f32 v77, v12, v29
	v_mul_f32_e32 v78, v47, v31
	v_fma_f32 v8, v44, v34, -v62
	s_wait_dscnt 0x1
	v_dual_add_f32 v14, v50, v4 :: v_dual_mul_f32 v63, v44, v35
	v_sub_f32_e32 v44, v15, v53
	v_fma_f32 v7, v12, v28, -v76
	v_dual_fmac_f32 v59, v11, v32 :: v_dual_sub_f32 v54, v4, v6
	s_delay_alu instid0(VALU_DEP_4) | instskip(SKIP_3) | instid1(VALU_DEP_3)
	v_fmac_f32_e32 v63, v45, v34
	v_fma_f32 v12, v46, v30, -v78
	s_wait_dscnt 0x0
	v_dual_add_f32 v78, v74, v7 :: v_dual_fmac_f32 v57, v9, v38
	v_dual_fmac_f32 v77, v13, v28 :: v_dual_sub_f32 v58, v59, v63
	v_mul_f32_e32 v79, v46, v31
	v_dual_add_f32 v9, v48, v2 :: v_dual_add_f32 v62, v73, v59
	v_dual_add_f32 v11, v49, v15 :: v_dual_add_f32 v80, v7, v12
	v_dual_add_f32 v13, v15, v53 :: v_dual_sub_f32 v76, v5, v8
	v_dual_add_f32 v15, v4, v6 :: v_dual_sub_f32 v46, v55, v57
	v_dual_fmac_f32 v79, v47, v30 :: v_dual_add_f32 v56, v5, v8
	v_fma_f32 v4, -0.5, v10, v48
	v_add_f32_e32 v47, v51, v55
	v_add_f32_e32 v52, v55, v57
	;; [unrolled: 1-line block ×4, first 2 shown]
	v_fma_f32 v5, -0.5, v13, v49
	v_add_f32_e32 v6, v14, v6
	v_dual_fmamk_f32 v14, v44, 0x3f5db3d7, v4 :: v_dual_sub_f32 v45, v2, v3
	v_add_f32_e32 v82, v75, v77
	v_add_f32_e32 v2, v9, v3
	v_fma_f32 v50, -0.5, v15, v50
	v_dual_fmac_f32 v4, 0xbf5db3d7, v44 :: v_dual_sub_f32 v81, v77, v79
	v_dual_add_f32 v8, v55, v8 :: v_dual_add_f32 v77, v77, v79
	s_delay_alu instid0(VALU_DEP_3)
	v_fmamk_f32 v44, v46, 0x3f5db3d7, v50
	v_fma_f32 v74, -0.5, v80, v74
	v_fmac_f32_e32 v51, -0.5, v52
	v_fma_f32 v10, -0.5, v56, v72
	v_add_f32_e32 v3, v11, v53
	v_fma_f32 v11, -0.5, v59, v73
	v_dual_sub_f32 v83, v7, v12 :: v_dual_fmac_f32 v50, 0xbf5db3d7, v46
	v_fmac_f32_e32 v75, -0.5, v77
	v_fmamk_f32 v15, v45, 0xbf5db3d7, v5
	v_dual_fmac_f32 v5, 0x3f5db3d7, v45 :: v_dual_add_f32 v12, v78, v12
	v_dual_add_f32 v7, v47, v57 :: v_dual_fmamk_f32 v72, v81, 0x3f5db3d7, v74
	v_fmamk_f32 v45, v54, 0xbf5db3d7, v51
	v_fmac_f32_e32 v51, 0x3f5db3d7, v54
	v_dual_add_f32 v9, v62, v63 :: v_dual_fmac_f32 v74, 0xbf5db3d7, v81
	v_fmamk_f32 v46, v58, 0x3f5db3d7, v10
	v_fmamk_f32 v47, v76, 0xbf5db3d7, v11
	global_wb scope:SCOPE_SE
	s_barrier_signal -1
	s_barrier_wait -1
	global_inv scope:SCOPE_SE
	v_dual_add_f32 v13, v82, v79 :: v_dual_fmac_f32 v10, 0xbf5db3d7, v58
	v_fmac_f32_e32 v11, 0x3f5db3d7, v76
	v_fmamk_f32 v73, v83, 0xbf5db3d7, v75
	v_fmac_f32_e32 v75, 0x3f5db3d7, v83
	ds_store_2addr_b64 v131, v[2:3], v[14:15] offset1:68
	ds_store_b64 v131, v[4:5] offset:1088
	ds_store_2addr_b64 v130, v[6:7], v[44:45] offset1:68
	ds_store_b64 v130, v[50:51] offset:1088
	;; [unrolled: 2-line block ×4, first 2 shown]
	global_wb scope:SCOPE_SE
	s_wait_dscnt 0x0
	s_barrier_signal -1
	s_barrier_wait -1
	global_inv scope:SCOPE_SE
	ds_load_2addr_b64 v[76:79], v124 offset1:204
	ds_load_2addr_b64 v[96:99], v134 offset0:24 offset1:228
	ds_load_2addr_b64 v[92:95], v133 offset0:48 offset1:252
	;; [unrolled: 1-line block ×4, first 2 shown]
                                        ; implicit-def: $vgpr80
	s_and_saveexec_b32 s1, s0
	s_cbranch_execz .LBB0_9
; %bb.8:
	v_add_nc_u32_e32 v2, 0x400, v124
	v_add_nc_u32_e32 v3, 0x1200, v124
	;; [unrolled: 1-line block ×4, first 2 shown]
	ds_load_2addr_b64 v[72:75], v2 offset0:42 offset1:246
	ds_load_2addr_b64 v[68:71], v3 offset0:2 offset1:206
	ds_load_2addr_b64 v[64:67], v1 offset0:26 offset1:230
	ds_load_2addr_b64 v[60:63], v4 offset0:50 offset1:254
	ds_load_2addr_b64 v[80:83], v5 offset0:10 offset1:214
.LBB0_9:
	s_wait_alu 0xfffe
	s_or_b32 exec_lo, exec_lo, s1
	v_mad_co_u64_u32 v[1:2], null, 0x48, v123, s[2:3]
	s_clause 0x4
	global_load_b128 v[56:59], v[1:2], off offset:1496
	global_load_b128 v[52:55], v[1:2], off offset:1512
	;; [unrolled: 1-line block ×4, first 2 shown]
	global_load_b64 v[117:118], v[1:2], off offset:1560
	v_subrev_nc_u32_e32 v1, 34, v123
	s_delay_alu instid0(VALU_DEP_1) | instskip(NEXT) | instid1(VALU_DEP_1)
	v_cndmask_b32_e64 v0, v1, v0, s0
	v_mul_i32_i24_e32 v1, 0x48, v0
	v_mul_hi_i32_i24_e32 v0, 0x48, v0
	s_delay_alu instid0(VALU_DEP_2) | instskip(SKIP_1) | instid1(VALU_DEP_2)
	v_add_co_u32 v100, s1, s2, v1
	s_wait_alu 0xf1ff
	v_add_co_ci_u32_e64 v101, s1, s3, v0, s1
	s_clause 0x4
	global_load_b128 v[4:7], v[100:101], off offset:1496
	global_load_b128 v[0:3], v[100:101], off offset:1512
	;; [unrolled: 1-line block ×4, first 2 shown]
	global_load_b64 v[109:110], v[100:101], off offset:1560
	s_wait_loadcnt_dscnt 0x903
	v_dual_mul_f32 v101, v79, v57 :: v_dual_mul_f32 v102, v97, v59
	v_dual_mul_f32 v100, v78, v57 :: v_dual_mul_f32 v103, v96, v59
	s_wait_loadcnt_dscnt 0x802
	v_dual_mul_f32 v104, v99, v53 :: v_dual_mul_f32 v107, v92, v55
	v_dual_mul_f32 v105, v98, v53 :: v_dual_mul_f32 v106, v93, v55
	;; [unrolled: 3-line block ×4, first 2 shown]
	s_wait_loadcnt 0x5
	v_dual_mul_f32 v143, v86, v118 :: v_dual_fmac_f32 v100, v79, v56
	v_fma_f32 v79, v96, v58, -v102
	v_dual_fmac_f32 v103, v97, v58 :: v_dual_fmac_f32 v120, v95, v48
	v_fma_f32 v92, v92, v54, -v106
	v_fma_f32 v88, v88, v50, -v136
	v_mul_f32_e32 v142, v87, v118
	v_fmac_f32_e32 v137, v89, v50
	v_fma_f32 v84, v84, v46, -v140
	v_fmac_f32_e32 v141, v85, v46
	v_fmac_f32_e32 v107, v93, v54
	v_fma_f32 v78, v78, v56, -v101
	v_fma_f32 v96, v98, v52, -v104
	v_fmac_f32_e32 v105, v99, v52
	v_fma_f32 v93, v94, v48, -v119
	v_fma_f32 v89, v90, v44, -v138
	v_dual_fmac_f32 v139, v91, v44 :: v_dual_sub_f32 v98, v92, v79
	v_dual_fmac_f32 v143, v87, v117 :: v_dual_sub_f32 v104, v92, v88
	v_add_f32_e32 v87, v92, v88
	v_fma_f32 v85, v86, v117, -v142
	v_add_f32_e32 v86, v76, v79
	v_sub_f32_e32 v90, v103, v141
	v_sub_f32_e32 v94, v79, v92
	v_dual_sub_f32 v95, v84, v88 :: v_dual_sub_f32 v106, v103, v107
	v_add_f32_e32 v102, v107, v137
	v_dual_add_f32 v97, v79, v84 :: v_dual_sub_f32 v138, v137, v141
	v_dual_sub_f32 v91, v107, v137 :: v_dual_add_f32 v140, v78, v96
	v_dual_sub_f32 v99, v88, v84 :: v_dual_add_f32 v136, v103, v141
	v_dual_add_f32 v101, v77, v103 :: v_dual_sub_f32 v146, v96, v93
	v_dual_sub_f32 v79, v79, v84 :: v_dual_add_f32 v142, v93, v89
	v_dual_sub_f32 v119, v141, v137 :: v_dual_add_f32 v152, v120, v139
	;; [unrolled: 1-line block ×4, first 2 shown]
	s_wait_loadcnt 0x0
	v_dual_sub_f32 v147, v85, v89 :: v_dual_mul_f32 v174, v83, v110
	v_dual_sub_f32 v153, v93, v89 :: v_dual_add_f32 v86, v86, v92
	v_add_f32_e32 v156, v105, v143
	v_dual_mul_f32 v158, v75, v5 :: v_dual_mul_f32 v161, v68, v7
	v_dual_mul_f32 v159, v74, v5 :: v_dual_mul_f32 v160, v69, v7
	;; [unrolled: 1-line block ×8, first 2 shown]
	v_add_f32_e32 v92, v94, v95
	v_fma_f32 v94, -0.5, v97, v76
	v_dual_sub_f32 v145, v120, v139 :: v_dual_sub_f32 v150, v89, v85
	v_dual_sub_f32 v149, v93, v96 :: v_dual_sub_f32 v96, v96, v85
	;; [unrolled: 1-line block ×3, first 2 shown]
	v_sub_f32_e32 v105, v120, v105
	v_sub_f32_e32 v157, v139, v143
	v_mul_f32_e32 v175, v82, v110
	v_fma_f32 v87, -0.5, v87, v76
	v_dual_add_f32 v76, v98, v99 :: v_dual_add_f32 v93, v140, v93
	v_add_f32_e32 v95, v101, v107
	v_fma_f32 v176, -0.5, v102, v77
	v_dual_add_f32 v97, v106, v119 :: v_dual_add_f32 v102, v149, v150
	v_fma_f32 v101, -0.5, v136, v77
	v_add_f32_e32 v77, v103, v138
	v_fma_f32 v98, -0.5, v142, v78
	v_dual_add_f32 v99, v146, v147 :: v_dual_fmac_f32 v78, -0.5, v148
	v_add_f32_e32 v103, v151, v120
	v_fma_f32 v106, -0.5, v152, v100
	v_fmac_f32_e32 v100, -0.5, v156
	v_fma_f32 v74, v74, v4, -v158
	v_fma_f32 v68, v68, v6, -v160
	v_fmac_f32_e32 v161, v69, v6
	v_fma_f32 v69, v70, v0, -v162
	v_fma_f32 v64, v64, v2, -v164
	v_fmac_f32_e32 v165, v65, v2
	v_fma_f32 v65, v66, v12, -v166
	v_fma_f32 v60, v60, v14, -v168
	v_fmamk_f32 v70, v91, 0xbf737871, v94
	v_dual_fmac_f32 v94, 0x3f737871, v91 :: v_dual_fmac_f32 v169, v61, v14
	v_fma_f32 v61, v62, v8, -v170
	v_fma_f32 v62, v80, v10, -v172
	v_add_f32_e32 v107, v154, v155
	v_dual_fmac_f32 v159, v75, v4 :: v_dual_add_f32 v80, v93, v89
	v_fmac_f32_e32 v163, v71, v0
	v_fmac_f32_e32 v167, v67, v12
	;; [unrolled: 1-line block ×3, first 2 shown]
	v_dual_fmac_f32 v175, v83, v109 :: v_dual_sub_f32 v120, v68, v64
	v_add_f32_e32 v66, v86, v88
	v_dual_fmamk_f32 v67, v90, 0x3f737871, v87 :: v_dual_sub_f32 v138, v64, v68
	v_dual_fmac_f32 v87, 0xbf737871, v90 :: v_dual_sub_f32 v136, v62, v60
	v_dual_add_f32 v71, v95, v137 :: v_dual_fmamk_f32 v86, v104, 0x3f737871, v101
	v_fmamk_f32 v88, v145, 0xbf737871, v78
	v_fmac_f32_e32 v78, 0x3f737871, v145
	v_fmamk_f32 v81, v144, 0x3f737871, v98
	v_fmac_f32_e32 v98, 0xbf737871, v144
	v_dual_sub_f32 v150, v165, v161 :: v_dual_fmac_f32 v171, v63, v8
	v_add_f32_e32 v140, v73, v161
	v_fma_f32 v63, v82, v109, -v174
	v_add_f32_e32 v82, v103, v139
	v_dual_fmamk_f32 v75, v79, 0xbf737871, v176 :: v_dual_add_f32 v142, v165, v169
	v_dual_fmamk_f32 v89, v96, 0xbf737871, v106 :: v_dual_add_f32 v152, v74, v69
	v_fmac_f32_e32 v106, 0x3f737871, v96
	v_dual_fmac_f32 v101, 0xbf737871, v104 :: v_dual_sub_f32 v148, v173, v169
	v_dual_fmamk_f32 v93, v153, 0x3f737871, v100 :: v_dual_sub_f32 v146, v64, v60
	v_dual_fmac_f32 v100, 0xbf737871, v153 :: v_dual_add_f32 v83, v72, v68
	v_dual_add_f32 v154, v65, v61 :: v_dual_add_f32 v95, v64, v60
	v_dual_sub_f32 v156, v167, v171 :: v_dual_add_f32 v105, v105, v157
	v_dual_fmac_f32 v176, 0x3f737871, v79 :: v_dual_sub_f32 v103, v161, v173
	v_dual_add_f32 v164, v159, v163 :: v_dual_sub_f32 v119, v165, v169
	v_dual_add_f32 v166, v167, v171 :: v_dual_add_f32 v137, v68, v62
	v_dual_sub_f32 v158, v63, v61 :: v_dual_sub_f32 v139, v60, v62
	v_add_f32_e32 v160, v69, v63
	v_dual_sub_f32 v68, v68, v62 :: v_dual_sub_f32 v147, v161, v165
	v_dual_sub_f32 v170, v163, v167 :: v_dual_add_f32 v149, v161, v173
	v_dual_sub_f32 v172, v175, v171 :: v_dual_sub_f32 v151, v169, v173
	v_add_f32_e32 v174, v163, v175
	v_dual_sub_f32 v155, v163, v175 :: v_dual_sub_f32 v168, v65, v61
	v_dual_sub_f32 v157, v69, v65 :: v_dual_add_f32 v66, v66, v84
	v_dual_sub_f32 v161, v65, v69 :: v_dual_fmac_f32 v70, 0x3f167918, v90
	v_dual_sub_f32 v162, v61, v63 :: v_dual_add_f32 v71, v71, v141
	v_dual_fmac_f32 v67, 0x3f167918, v91 :: v_dual_fmac_f32 v88, 0x3f167918, v144
	v_dual_fmac_f32 v87, 0xbf167918, v91 :: v_dual_fmac_f32 v78, 0xbf167918, v144
	;; [unrolled: 1-line block ×4, first 2 shown]
	v_dual_fmac_f32 v89, 0xbf167918, v153 :: v_dual_add_f32 v64, v83, v64
	v_fma_f32 v141, -0.5, v95, v72
	v_add_f32_e32 v84, v120, v136
	v_fma_f32 v136, -0.5, v142, v73
	v_add_f32_e32 v65, v152, v65
	v_fma_f32 v120, -0.5, v154, v74
	v_dual_sub_f32 v69, v69, v63 :: v_dual_fmac_f32 v94, 0xbf167918, v90
	v_dual_sub_f32 v163, v167, v163 :: v_dual_fmac_f32 v176, 0x3f167918, v104
	;; [unrolled: 1-line block ×3, first 2 shown]
	v_dual_fmac_f32 v75, 0xbf167918, v104 :: v_dual_fmac_f32 v86, 0xbf167918, v79
	v_dual_add_f32 v79, v80, v85 :: v_dual_add_f32 v80, v82, v143
	v_dual_fmac_f32 v93, 0xbf167918, v96 :: v_dual_fmac_f32 v72, -0.5, v137
	v_dual_add_f32 v85, v138, v139 :: v_dual_add_f32 v90, v140, v165
	v_add_f32_e32 v91, v147, v148
	v_dual_fmac_f32 v73, -0.5, v149 :: v_dual_add_f32 v96, v157, v158
	v_dual_add_f32 v95, v150, v151 :: v_dual_fmac_f32 v74, -0.5, v160
	v_dual_add_f32 v104, v161, v162 :: v_dual_add_f32 v137, v164, v167
	v_add_f32_e32 v140, v163, v177
	v_fma_f32 v138, -0.5, v166, v159
	v_dual_fmac_f32 v159, -0.5, v174 :: v_dual_fmac_f32 v70, 0x3e9e377a, v76
	v_dual_fmac_f32 v101, 0x3e9e377a, v77 :: v_dual_fmac_f32 v88, 0x3e9e377a, v102
	v_dual_fmac_f32 v81, 0x3e9e377a, v99 :: v_dual_fmac_f32 v78, 0x3e9e377a, v102
	;; [unrolled: 1-line block ×3, first 2 shown]
	v_add_f32_e32 v60, v64, v60
	v_fmamk_f32 v64, v103, 0x3f737871, v141
	v_dual_fmac_f32 v141, 0xbf737871, v103 :: v_dual_fmamk_f32 v142, v68, 0xbf737871, v136
	v_add_f32_e32 v61, v65, v61
	v_dual_fmamk_f32 v65, v155, 0x3f737871, v120 :: v_dual_fmamk_f32 v144, v168, 0x3f737871, v159
	v_dual_add_f32 v139, v170, v172 :: v_dual_fmac_f32 v176, 0x3e9e377a, v97
	v_dual_fmac_f32 v67, 0x3e9e377a, v92 :: v_dual_fmac_f32 v86, 0x3e9e377a, v77
	v_dual_fmac_f32 v87, 0x3e9e377a, v92 :: v_dual_fmac_f32 v98, 0x3e9e377a, v99
	;; [unrolled: 1-line block ×4, first 2 shown]
	v_dual_add_f32 v76, v66, v79 :: v_dual_add_f32 v77, v71, v80
	v_dual_sub_f32 v82, v66, v79 :: v_dual_sub_f32 v83, v71, v80
	v_fmamk_f32 v66, v119, 0xbf737871, v72
	v_dual_fmac_f32 v72, 0x3f737871, v119 :: v_dual_fmamk_f32 v143, v146, 0x3f737871, v73
	v_dual_add_f32 v71, v90, v169 :: v_dual_fmac_f32 v136, 0x3f737871, v68
	v_add_f32_e32 v79, v137, v171
	v_dual_fmac_f32 v73, 0xbf737871, v146 :: v_dual_fmac_f32 v120, 0xbf737871, v155
	v_dual_fmac_f32 v159, 0xbf737871, v168 :: v_dual_fmamk_f32 v92, v156, 0xbf737871, v74
	v_mul_f32_e32 v145, 0xbf737871, v88
	v_dual_fmac_f32 v74, 0x3f737871, v156 :: v_dual_mul_f32 v105, 0x3f737871, v93
	v_dual_fmamk_f32 v137, v69, 0xbf737871, v138 :: v_dual_add_f32 v60, v60, v62
	v_dual_mul_f32 v102, 0x3f167918, v89 :: v_dual_fmac_f32 v73, 0x3f167918, v68
	v_dual_mul_f32 v80, 0x3e9e377a, v78 :: v_dual_mul_f32 v97, 0x3e9e377a, v100
	v_dual_fmac_f32 v64, 0x3f167918, v119 :: v_dual_fmac_f32 v65, 0x3f167918, v156
	v_dual_fmac_f32 v141, 0xbf167918, v119 :: v_dual_fmac_f32 v142, 0xbf167918, v146
	v_dual_fmac_f32 v138, 0x3f737871, v69 :: v_dual_add_f32 v61, v61, v63
	v_dual_mul_f32 v90, 0x3f4f1bbd, v98 :: v_dual_add_f32 v63, v79, v175
	v_dual_mul_f32 v107, 0xbf167918, v81 :: v_dual_fmac_f32 v72, 0xbf167918, v103
	v_dual_mul_f32 v99, 0x3f4f1bbd, v106 :: v_dual_add_f32 v62, v71, v173
	v_dual_fmac_f32 v66, 0x3f167918, v103 :: v_dual_fmac_f32 v159, 0x3f167918, v69
	v_fmac_f32_e32 v136, 0x3f167918, v146
	v_dual_fmac_f32 v143, 0xbf167918, v68 :: v_dual_fmac_f32 v74, 0xbf167918, v155
	v_dual_fmac_f32 v137, 0xbf167918, v168 :: v_dual_fmac_f32 v144, 0xbf167918, v69
	v_fma_f32 v68, 0x3f737871, v100, -v80
	v_dual_fmac_f32 v145, 0x3e9e377a, v93 :: v_dual_fmac_f32 v64, 0x3e9e377a, v84
	v_fmac_f32_e32 v92, 0x3f167918, v155
	v_fma_f32 v71, 0xbf737871, v78, -v97
	v_fmac_f32_e32 v102, 0x3f4f1bbd, v81
	v_dual_fmac_f32 v142, 0x3e9e377a, v91 :: v_dual_fmac_f32 v65, 0x3e9e377a, v96
	v_fmac_f32_e32 v120, 0xbf167918, v156
	v_dual_fmac_f32 v105, 0x3e9e377a, v88 :: v_dual_fmac_f32 v66, 0x3e9e377a, v85
	v_fma_f32 v69, 0x3f167918, v106, -v90
	v_fma_f32 v88, 0xbf167918, v98, -v99
	v_dual_fmac_f32 v141, 0x3e9e377a, v84 :: v_dual_fmac_f32 v72, 0x3e9e377a, v85
	v_dual_fmac_f32 v74, 0x3e9e377a, v104 :: v_dual_fmac_f32 v137, 0x3e9e377a, v139
	v_fmac_f32_e32 v159, 0x3e9e377a, v140
	v_add_f32_e32 v85, v62, v63
	v_fmac_f32_e32 v136, 0x3e9e377a, v91
	v_add_f32_e32 v98, v94, v68
	v_add_f32_e32 v97, v86, v145
	v_dual_fmac_f32 v73, 0x3e9e377a, v95 :: v_dual_fmac_f32 v92, 0x3e9e377a, v104
	v_add_f32_e32 v99, v101, v71
	v_dual_fmac_f32 v107, 0x3f4f1bbd, v89 :: v_dual_add_f32 v78, v67, v102
	v_fmac_f32_e32 v144, 0x3e9e377a, v140
	v_dual_sub_f32 v104, v67, v102 :: v_dual_mul_f32 v67, 0xbf167918, v65
	s_delay_alu instid0(VALU_DEP_3)
	v_dual_fmac_f32 v138, 0x3f167918, v168 :: v_dual_add_f32 v79, v75, v107
	v_dual_add_f32 v84, v60, v61 :: v_dual_sub_f32 v101, v101, v71
	v_sub_f32_e32 v91, v62, v63
	v_dual_fmac_f32 v143, 0x3e9e377a, v95 :: v_dual_fmac_f32 v120, 0x3e9e377a, v96
	v_dual_add_f32 v96, v70, v105 :: v_dual_sub_f32 v103, v176, v88
	v_add_f32_e32 v80, v87, v69
	v_sub_f32_e32 v106, v70, v105
	v_dual_sub_f32 v100, v94, v68 :: v_dual_fmac_f32 v67, 0x3f4f1bbd, v137
	v_dual_sub_f32 v105, v75, v107 :: v_dual_sub_f32 v90, v60, v61
	v_dual_mul_f32 v61, 0x3f737871, v144 :: v_dual_sub_f32 v102, v87, v69
	s_delay_alu instid0(VALU_DEP_3) | instskip(SKIP_2) | instid1(VALU_DEP_3)
	v_dual_mul_f32 v60, 0x3f167918, v137 :: v_dual_add_f32 v87, v142, v67
	v_mul_f32_e32 v69, 0x3e9e377a, v159
	v_dual_fmac_f32 v138, 0x3e9e377a, v139 :: v_dual_add_f32 v81, v176, v88
	v_fmac_f32_e32 v60, 0x3f4f1bbd, v65
	v_fmac_f32_e32 v61, 0x3e9e377a, v92
	s_delay_alu instid0(VALU_DEP_4) | instskip(SKIP_2) | instid1(VALU_DEP_4)
	v_fma_f32 v65, 0xbf737871, v74, -v69
	v_mul_f32_e32 v68, 0xbf737871, v92
	v_dual_mul_f32 v63, 0x3f4f1bbd, v120 :: v_dual_mul_f32 v70, 0x3f4f1bbd, v138
	v_add_f32_e32 v92, v66, v61
	s_delay_alu instid0(VALU_DEP_3) | instskip(SKIP_3) | instid1(VALU_DEP_4)
	v_dual_add_f32 v95, v73, v65 :: v_dual_fmac_f32 v68, 0x3e9e377a, v144
	v_sub_f32_e32 v66, v66, v61
	v_dual_sub_f32 v61, v73, v65 :: v_dual_mul_f32 v62, 0x3e9e377a, v74
	v_fma_f32 v63, 0x3f167918, v138, -v63
	v_add_f32_e32 v93, v143, v68
	v_fma_f32 v69, 0xbf167918, v120, -v70
	v_sub_f32_e32 v107, v86, v145
	v_fma_f32 v62, 0x3f737871, v159, -v62
	v_add_f32_e32 v88, v141, v63
	s_delay_alu instid0(VALU_DEP_4)
	v_dual_sub_f32 v120, v142, v67 :: v_dual_add_f32 v89, v136, v69
	v_sub_f32_e32 v67, v143, v68
	v_add_f32_e32 v86, v64, v60
	v_add_f32_e32 v94, v72, v62
	v_sub_f32_e32 v119, v64, v60
	v_sub_f32_e32 v60, v72, v62
	v_dual_sub_f32 v62, v141, v63 :: v_dual_sub_f32 v63, v136, v69
	ds_store_2addr_b64 v124, v[76:77], v[78:79] offset1:204
	ds_store_2addr_b64 v134, v[96:97], v[98:99] offset0:24 offset1:228
	ds_store_2addr_b64 v133, v[80:81], v[82:83] offset0:48 offset1:252
	;; [unrolled: 1-line block ×4, first 2 shown]
	s_and_saveexec_b32 s1, s0
	s_cbranch_execz .LBB0_11
; %bb.10:
	v_add_nc_u32_e32 v64, 0x400, v124
	v_add_nc_u32_e32 v65, 0x1200, v124
	;; [unrolled: 1-line block ×5, first 2 shown]
	ds_store_2addr_b64 v64, v[84:85], v[86:87] offset0:42 offset1:246
	ds_store_2addr_b64 v65, v[92:93], v[94:95] offset0:2 offset1:206
	;; [unrolled: 1-line block ×5, first 2 shown]
.LBB0_11:
	s_wait_alu 0xfffe
	s_or_b32 exec_lo, exec_lo, s1
	global_wb scope:SCOPE_SE
	s_wait_dscnt 0x0
	s_barrier_signal -1
	s_barrier_wait -1
	global_inv scope:SCOPE_SE
	s_and_saveexec_b32 s1, vcc_lo
	s_cbranch_execz .LBB0_13
; %bb.12:
	global_load_b64 v[64:65], v122, s[12:13] offset:16320
	s_add_nc_u64 s[2:3], s[12:13], 0x3fc0
	s_clause 0xf
	global_load_b64 v[156:157], v122, s[2:3] offset:960
	global_load_b64 v[158:159], v122, s[2:3] offset:1920
	;; [unrolled: 1-line block ×16, first 2 shown]
	ds_load_b64 v[68:69], v124
	v_add_nc_u32_e32 v188, 0x800, v122
	v_add_nc_u32_e32 v189, 0x1000, v122
	;; [unrolled: 1-line block ×3, first 2 shown]
	s_wait_loadcnt_dscnt 0x1000
	v_mul_f32_e32 v70, v69, v65
	v_mul_f32_e32 v71, v68, v65
	s_delay_alu instid0(VALU_DEP_2) | instskip(NEXT) | instid1(VALU_DEP_2)
	v_fma_f32 v70, v68, v64, -v70
	v_fmac_f32_e32 v71, v69, v64
	ds_store_b64 v124, v[70:71]
	ds_load_2addr_b64 v[68:71], v122 offset0:120 offset1:240
	ds_load_2addr_b64 v[72:75], v188 offset0:104 offset1:224
	v_add_nc_u32_e32 v191, 0x2000, v122
	v_add_nc_u32_e32 v192, 0x2800, v122
	ds_load_2addr_b64 v[132:135], v189 offset0:88 offset1:208
	v_add_nc_u32_e32 v193, 0x3000, v122
	ds_load_2addr_b64 v[136:139], v190 offset0:72 offset1:192
	s_wait_loadcnt_dscnt 0xe03
	v_dual_mul_f32 v195, v71, v159 :: v_dual_add_nc_u32 v194, 0x3800, v122
	v_mul_f32_e32 v64, v69, v157
	v_mul_f32_e32 v65, v68, v157
	s_wait_loadcnt_dscnt 0xd02
	v_mul_f32_e32 v196, v73, v161
	ds_load_2addr_b64 v[140:143], v191 offset0:56 offset1:176
	ds_load_2addr_b64 v[144:147], v192 offset0:40 offset1:160
	;; [unrolled: 1-line block ×4, first 2 shown]
	s_wait_loadcnt_dscnt 0xb05
	v_dual_mul_f32 v157, v70, v159 :: v_dual_mul_f32 v198, v133, v165
	v_mul_f32_e32 v159, v72, v161
	s_wait_loadcnt_dscnt 0x904
	v_dual_mul_f32 v197, v75, v163 :: v_dual_mul_f32 v200, v137, v169
	v_mul_f32_e32 v161, v74, v163
	v_mul_f32_e32 v163, v132, v165
	;; [unrolled: 1-line block ×5, first 2 shown]
	s_wait_loadcnt 0x8
	v_mul_f32_e32 v201, v139, v171
	v_mul_f32_e32 v169, v138, v171
	v_fma_f32 v64, v68, v156, -v64
	v_fmac_f32_e32 v65, v69, v156
	v_fma_f32 v156, v70, v158, -v195
	s_wait_loadcnt_dscnt 0x703
	v_dual_fmac_f32 v157, v71, v158 :: v_dual_mul_f32 v202, v141, v173
	v_mul_f32_e32 v171, v140, v173
	s_wait_loadcnt_dscnt 0x100
	v_dual_mul_f32 v203, v143, v175 :: v_dual_mul_f32 v208, v153, v185
	v_dual_mul_f32 v173, v142, v175 :: v_dual_mul_f32 v204, v145, v177
	v_mul_f32_e32 v175, v144, v177
	v_mul_f32_e32 v205, v147, v179
	v_dual_mul_f32 v177, v146, v179 :: v_dual_mul_f32 v206, v149, v181
	v_mul_f32_e32 v179, v148, v181
	v_mul_f32_e32 v207, v151, v183
	;; [unrolled: 1-line block ×4, first 2 shown]
	s_wait_loadcnt 0x0
	v_mul_f32_e32 v209, v155, v187
	v_mul_f32_e32 v185, v154, v187
	v_fma_f32 v158, v72, v160, -v196
	v_fmac_f32_e32 v159, v73, v160
	v_fma_f32 v160, v74, v162, -v197
	v_fmac_f32_e32 v161, v75, v162
	;; [unrolled: 2-line block ×14, first 2 shown]
	ds_store_2addr_b64 v122, v[64:65], v[156:157] offset0:120 offset1:240
	ds_store_2addr_b64 v188, v[158:159], v[160:161] offset0:104 offset1:224
	;; [unrolled: 1-line block ×8, first 2 shown]
.LBB0_13:
	s_wait_alu 0xfffe
	s_or_b32 exec_lo, exec_lo, s1
	global_wb scope:SCOPE_SE
	s_wait_dscnt 0x0
	s_barrier_signal -1
	s_barrier_wait -1
	global_inv scope:SCOPE_SE
	s_and_saveexec_b32 s1, vcc_lo
	s_cbranch_execz .LBB0_15
; %bb.14:
	v_add_nc_u32_e32 v64, 0x400, v124
	v_add_nc_u32_e32 v65, 0xc00, v124
	;; [unrolled: 1-line block ×3, first 2 shown]
	ds_load_2addr_b64 v[76:79], v124 offset1:120
	v_add_nc_u32_e32 v69, 0x2c00, v124
	ds_load_2addr_b64 v[96:99], v64 offset0:112 offset1:232
	ds_load_2addr_b64 v[80:83], v65 offset0:96 offset1:216
	v_add_nc_u32_e32 v64, 0x1c00, v124
	v_add_nc_u32_e32 v65, 0x2400, v124
	v_add_nc_u32_e32 v70, 0x3400, v124
	ds_load_2addr_b64 v[104:107], v68 offset0:80 offset1:200
	ds_load_2addr_b64 v[100:103], v64 offset0:64 offset1:184
	;; [unrolled: 1-line block ×5, first 2 shown]
	ds_load_b64 v[119:120], v124 offset:15360
.LBB0_15:
	s_wait_alu 0xfffe
	s_or_b32 exec_lo, exec_lo, s1
	s_wait_dscnt 0x0
	v_dual_sub_f32 v204, v79, v120 :: v_dual_sub_f32 v207, v78, v119
	v_add_f32_e32 v206, v120, v79
	v_add_f32_e32 v202, v119, v78
	v_dual_sub_f32 v156, v97, v91 :: v_dual_add_f32 v161, v91, v97
	s_delay_alu instid0(VALU_DEP_4) | instskip(NEXT) | instid1(VALU_DEP_4)
	v_mul_f32_e32 v217, 0xbf65296c, v204
	v_mul_f32_e32 v213, 0x3f6eb680, v206
	s_delay_alu instid0(VALU_DEP_3) | instskip(NEXT) | instid1(VALU_DEP_4)
	v_dual_sub_f32 v133, v96, v90 :: v_dual_mul_f32 v208, 0xbf2c7751, v156
	v_dual_mul_f32 v148, 0xbf1a4643, v161 :: v_dual_add_f32 v173, v89, v99
	s_delay_alu instid0(VALU_DEP_3)
	v_fmamk_f32 v65, v207, 0xbeb8f4ab, v213
	v_mul_f32_e32 v223, 0x3dbcf732, v206
	v_mul_f32_e32 v212, 0xbeb8f4ab, v204
	;; [unrolled: 1-line block ×5, first 2 shown]
	v_fmamk_f32 v73, v207, 0xbf7ee86f, v223
	v_add_f32_e32 v65, v77, v65
	v_fma_f32 v64, 0x3f6eb680, v202, -v212
	v_dual_fmamk_f32 v69, v207, 0xbf2c7751, v215 :: v_dual_add_f32 v132, v90, v96
	s_delay_alu instid0(VALU_DEP_4) | instskip(SKIP_1) | instid1(VALU_DEP_3)
	v_add_f32_e32 v73, v77, v73
	v_fma_f32 v68, 0x3f3d2fb0, v202, -v214
	v_dual_mul_f32 v218, 0x3ee437d1, v206 :: v_dual_add_f32 v69, v77, v69
	v_add_f32_e32 v64, v76, v64
	v_fma_f32 v134, 0x3f3d2fb0, v132, -v208
	s_delay_alu instid0(VALU_DEP_4) | instskip(SKIP_1) | instid1(VALU_DEP_3)
	v_dual_mul_f32 v229, 0xbe8c1d8e, v206 :: v_dual_add_f32 v68, v76, v68
	v_fma_f32 v70, 0x3ee437d1, v202, -v217
	v_dual_fmamk_f32 v71, v207, 0xbf65296c, v218 :: v_dual_add_f32 v64, v134, v64
	s_delay_alu instid0(VALU_DEP_3) | instskip(SKIP_1) | instid1(VALU_DEP_3)
	v_fmamk_f32 v75, v207, 0xbf763a35, v229
	v_mul_f32_e32 v140, 0xbf7ee86f, v156
	v_dual_add_f32 v70, v76, v70 :: v_dual_add_f32 v71, v77, v71
	s_delay_alu instid0(VALU_DEP_3) | instskip(NEXT) | instid1(VALU_DEP_3)
	v_dual_mul_f32 v228, 0xbf763a35, v204 :: v_dual_add_f32 v75, v77, v75
	v_fma_f32 v136, 0x3dbcf732, v132, -v140
	v_fma_f32 v72, 0x3dbcf732, v202, -v222
	v_mul_f32_e32 v137, 0xbf7ba420, v161
	s_delay_alu instid0(VALU_DEP_4) | instskip(NEXT) | instid1(VALU_DEP_4)
	v_fma_f32 v74, 0xbe8c1d8e, v202, -v228
	v_dual_mul_f32 v209, 0x3f3d2fb0, v161 :: v_dual_add_f32 v68, v136, v68
	s_delay_alu instid0(VALU_DEP_3) | instskip(SKIP_1) | instid1(VALU_DEP_4)
	v_dual_mul_f32 v136, 0xbe3c28d5, v156 :: v_dual_fmamk_f32 v141, v133, 0xbe3c28d5, v137
	v_add_f32_e32 v72, v76, v72
	v_dual_add_f32 v74, v76, v74 :: v_dual_mul_f32 v147, 0xbf4c4adb, v156
	v_fmamk_f32 v138, v133, 0xbf4c4adb, v148
	v_mul_f32_e32 v142, 0x3dbcf732, v161
	v_fma_f32 v139, 0xbf7ba420, v132, -v136
	v_fmamk_f32 v135, v133, 0xbf2c7751, v209
	v_sub_f32_e32 v169, v99, v89
	s_delay_alu instid0(VALU_DEP_4) | instskip(NEXT) | instid1(VALU_DEP_4)
	v_dual_add_f32 v71, v138, v71 :: v_dual_fmamk_f32 v134, v133, 0xbf7ee86f, v142
	v_add_f32_e32 v72, v139, v72
	s_delay_alu instid0(VALU_DEP_4) | instskip(SKIP_4) | instid1(VALU_DEP_4)
	v_add_f32_e32 v65, v135, v65
	v_fma_f32 v135, 0xbf1a4643, v132, -v147
	v_mul_f32_e32 v163, 0xbf59a7d5, v161
	v_dual_add_f32 v69, v134, v69 :: v_dual_add_f32 v134, v88, v98
	v_mul_f32_e32 v224, 0xbf65296c, v169
	v_dual_add_f32 v70, v135, v70 :: v_dual_sub_f32 v135, v98, v88
	s_delay_alu instid0(VALU_DEP_4) | instskip(SKIP_2) | instid1(VALU_DEP_3)
	v_fmamk_f32 v139, v133, 0x3f06c442, v163
	v_dual_mul_f32 v158, 0xbf7ba420, v173 :: v_dual_sub_f32 v181, v81, v95
	v_mul_f32_e32 v155, 0x3e3c28d5, v169
	v_dual_mul_f32 v226, 0x3ee437d1, v173 :: v_dual_add_f32 v75, v139, v75
	s_delay_alu instid0(VALU_DEP_3) | instskip(SKIP_1) | instid1(VALU_DEP_4)
	v_fmamk_f32 v144, v135, 0x3e3c28d5, v158
	v_mul_f32_e32 v150, 0xbf1a4643, v173
	v_fma_f32 v139, 0xbf7ba420, v134, -v155
	v_mul_f32_e32 v159, 0x3f06c442, v156
	v_fmamk_f32 v143, v135, 0xbf65296c, v226
	v_dual_add_f32 v71, v144, v71 :: v_dual_add_f32 v186, v95, v81
	s_delay_alu instid0(VALU_DEP_4)
	v_add_f32_e32 v70, v139, v70
	v_sub_f32_e32 v139, v80, v94
	v_fma_f32 v138, 0xbf59a7d5, v132, -v159
	v_add_f32_e32 v73, v141, v73
	v_fma_f32 v141, 0x3ee437d1, v134, -v224
	v_mul_f32_e32 v176, 0x3f3d2fb0, v173
	s_delay_alu instid0(VALU_DEP_4) | instskip(NEXT) | instid1(VALU_DEP_3)
	v_dual_mul_f32 v153, 0xbe3c28d5, v181 :: v_dual_add_f32 v74, v138, v74
	v_dual_mul_f32 v235, 0x3dbcf732, v186 :: v_dual_add_f32 v64, v141, v64
	v_mul_f32_e32 v145, 0xbf4c4adb, v169
	v_mul_f32_e32 v171, 0x3f2c7751, v169
	s_delay_alu instid0(VALU_DEP_3) | instskip(SKIP_1) | instid1(VALU_DEP_4)
	v_dual_mul_f32 v234, 0xbf7ee86f, v181 :: v_dual_fmamk_f32 v151, v139, 0xbf7ee86f, v235
	v_mul_f32_e32 v172, 0xbe8c1d8e, v186
	v_fma_f32 v138, 0xbf1a4643, v134, -v145
	s_delay_alu instid0(VALU_DEP_4) | instskip(SKIP_2) | instid1(VALU_DEP_4)
	v_fma_f32 v144, 0x3f3d2fb0, v134, -v171
	v_mul_f32_e32 v168, 0x3f763a35, v181
	v_dual_add_f32 v198, v93, v83 :: v_dual_sub_f32 v193, v83, v93
	v_add_f32_e32 v68, v138, v68
	v_fmamk_f32 v138, v135, 0xbf4c4adb, v150
	v_add_f32_e32 v74, v144, v74
	v_mul_f32_e32 v160, 0xbf7ba420, v186
	global_wb scope:SCOPE_SE
	s_barrier_signal -1
	v_add_f32_e32 v69, v138, v69
	v_dual_add_f32 v138, v94, v80 :: v_dual_add_f32 v65, v143, v65
	s_barrier_wait -1
	global_inv scope:SCOPE_SE
	v_mul_f32_e32 v184, 0xbf65296c, v181
	v_fma_f32 v144, 0xbf7ba420, v138, -v153
	v_mul_f32_e32 v143, 0xbe8c1d8e, v173
	v_add_f32_e32 v65, v151, v65
	v_mul_f32_e32 v151, 0x3f6eb680, v186
	v_mul_f32_e32 v188, 0x3ee437d1, v186
	s_delay_alu instid0(VALU_DEP_4)
	v_dual_add_f32 v68, v144, v68 :: v_dual_fmamk_f32 v149, v135, 0x3f763a35, v143
	v_fmamk_f32 v144, v139, 0xbe3c28d5, v160
	v_mul_f32_e32 v237, 0xbe8c1d8e, v198
	v_mul_f32_e32 v185, 0x3f3d2fb0, v198
	;; [unrolled: 1-line block ×3, first 2 shown]
	v_add_f32_e32 v73, v149, v73
	v_fma_f32 v149, 0x3dbcf732, v138, -v234
	v_mul_f32_e32 v141, 0x3f763a35, v169
	v_dual_sub_f32 v203, v105, v87 :: v_dual_add_f32 v210, v87, v105
	s_delay_alu instid0(VALU_DEP_3) | instskip(NEXT) | instid1(VALU_DEP_3)
	v_dual_sub_f32 v221, v107, v85 :: v_dual_add_f32 v64, v149, v64
	v_fma_f32 v146, 0xbe8c1d8e, v134, -v141
	s_delay_alu instid0(VALU_DEP_3)
	v_mul_f32_e32 v175, 0x3f763a35, v203
	v_mul_f32_e32 v149, 0x3eb8f4ab, v181
	;; [unrolled: 1-line block ×3, first 2 shown]
	v_dual_mul_f32 v174, 0xbf59a7d5, v210 :: v_dual_add_f32 v227, v85, v107
	v_add_f32_e32 v72, v146, v72
	v_fmamk_f32 v146, v135, 0x3f2c7751, v176
	v_dual_fmamk_f32 v152, v139, 0x3f763a35, v172 :: v_dual_add_f32 v69, v144, v69
	v_fmamk_f32 v144, v139, 0x3eb8f4ab, v151
	v_fma_f32 v154, 0x3f6eb680, v138, -v149
	s_delay_alu instid0(VALU_DEP_4)
	v_add_f32_e32 v75, v146, v75
	v_fma_f32 v146, 0xbe8c1d8e, v138, -v168
	v_add_f32_e32 v71, v152, v71
	v_add_f32_e32 v73, v144, v73
	v_fma_f32 v152, 0x3ee437d1, v138, -v184
	v_add_f32_e32 v144, v92, v82
	v_add_f32_e32 v70, v146, v70
	v_sub_f32_e32 v146, v82, v92
	v_mul_f32_e32 v236, 0xbf763a35, v193
	v_add_f32_e32 v72, v154, v72
	v_mul_f32_e32 v170, 0xbf59a7d5, v198
	v_mul_f32_e32 v205, 0x3dbcf732, v227
	v_dual_fmamk_f32 v157, v146, 0xbf763a35, v237 :: v_dual_add_f32 v74, v152, v74
	v_fmamk_f32 v152, v139, 0xbf65296c, v188
	v_fma_f32 v154, 0xbe8c1d8e, v144, -v236
	v_mul_f32_e32 v191, 0xbeb8f4ab, v203
	s_delay_alu instid0(VALU_DEP_4) | instskip(SKIP_4) | instid1(VALU_DEP_4)
	v_add_f32_e32 v65, v157, v65
	v_mul_f32_e32 v157, 0xbf65296c, v193
	v_dual_mul_f32 v166, 0x3f06c442, v193 :: v_dual_add_f32 v75, v152, v75
	v_add_f32_e32 v64, v154, v64
	v_fmamk_f32 v154, v146, 0x3f2c7751, v185
	v_fma_f32 v164, 0x3ee437d1, v144, -v157
	s_delay_alu instid0(VALU_DEP_4) | instskip(SKIP_2) | instid1(VALU_DEP_4)
	v_fma_f32 v162, 0xbf59a7d5, v144, -v166
	v_mul_f32_e32 v180, 0x3f2c7751, v193
	v_mul_f32_e32 v239, 0xbf1a4643, v210
	v_dual_add_f32 v71, v154, v71 :: v_dual_add_f32 v72, v164, v72
	s_delay_alu instid0(VALU_DEP_4)
	v_add_f32_e32 v68, v162, v68
	v_fmamk_f32 v164, v146, 0xbe3c28d5, v199
	v_mul_f32_e32 v162, 0x3ee437d1, v198
	v_mul_f32_e32 v195, 0x3f6eb680, v210
	;; [unrolled: 1-line block ×4, first 2 shown]
	v_add_f32_e32 v75, v164, v75
	v_fmamk_f32 v165, v146, 0xbf65296c, v162
	v_fmamk_f32 v152, v146, 0x3f06c442, v170
	v_mul_f32_e32 v240, 0xbf06c442, v221
	v_dual_sub_f32 v232, v101, v103 :: v_dual_add_f32 v233, v103, v101
	s_delay_alu instid0(VALU_DEP_4) | instskip(NEXT) | instid1(VALU_DEP_4)
	v_add_f32_e32 v73, v165, v73
	v_add_f32_e32 v69, v152, v69
	v_sub_f32_e32 v154, v104, v86
	v_fma_f32 v152, 0x3f3d2fb0, v144, -v180
	v_mul_f32_e32 v238, 0xbf4c4adb, v203
	v_mul_f32_e32 v196, 0x3eb8f4ab, v232
	;; [unrolled: 1-line block ×3, first 2 shown]
	s_delay_alu instid0(VALU_DEP_4) | instskip(SKIP_2) | instid1(VALU_DEP_3)
	v_dual_fmamk_f32 v167, v154, 0xbf4c4adb, v239 :: v_dual_add_f32 v70, v152, v70
	v_mul_f32_e32 v219, 0xbf59a7d5, v233
	v_mul_f32_e32 v231, 0xbf1a4643, v233
	v_dual_mul_f32 v242, 0xbe3c28d5, v232 :: v_dual_add_f32 v65, v167, v65
	v_fmamk_f32 v167, v154, 0xbeb8f4ab, v195
	v_mul_f32_e32 v194, 0xbe3c28d5, v193
	s_delay_alu instid0(VALU_DEP_2) | instskip(NEXT) | instid1(VALU_DEP_2)
	v_dual_mul_f32 v230, 0xbf4c4adb, v232 :: v_dual_add_f32 v71, v167, v71
	v_fma_f32 v152, 0xbf7ba420, v144, -v194
	s_delay_alu instid0(VALU_DEP_1) | instskip(SKIP_1) | instid1(VALU_DEP_1)
	v_dual_mul_f32 v187, 0x3f65296c, v221 :: v_dual_add_f32 v74, v152, v74
	v_add_f32_e32 v152, v86, v104
	v_fma_f32 v165, 0xbf1a4643, v152, -v238
	v_fma_f32 v164, 0xbe8c1d8e, v152, -v175
	;; [unrolled: 1-line block ×3, first 2 shown]
	s_delay_alu instid0(VALU_DEP_3) | instskip(NEXT) | instid1(VALU_DEP_3)
	v_dual_add_f32 v64, v165, v64 :: v_dual_fmamk_f32 v165, v154, 0x3f763a35, v182
	v_dual_add_f32 v68, v164, v68 :: v_dual_mul_f32 v211, 0x3dbcf732, v210
	s_delay_alu instid0(VALU_DEP_2) | instskip(SKIP_3) | instid1(VALU_DEP_3)
	v_add_f32_e32 v69, v165, v69
	v_fma_f32 v165, 0x3f6eb680, v152, -v191
	v_mul_f32_e32 v164, 0xbf06c442, v203
	v_dual_add_f32 v74, v167, v74 :: v_dual_sub_f32 v167, v106, v84
	v_dual_add_f32 v70, v165, v70 :: v_dual_fmamk_f32 v165, v154, 0xbf06c442, v174
	s_delay_alu instid0(VALU_DEP_3) | instskip(SKIP_1) | instid1(VALU_DEP_3)
	v_fma_f32 v177, 0xbf59a7d5, v152, -v164
	v_mul_f32_e32 v200, 0xbf7ee86f, v221
	v_add_f32_e32 v73, v165, v73
	s_delay_alu instid0(VALU_DEP_3) | instskip(SKIP_1) | instid1(VALU_DEP_2)
	v_dual_add_f32 v165, v84, v106 :: v_dual_add_f32 v72, v177, v72
	v_fmamk_f32 v177, v154, 0x3f7ee86f, v211
	v_fma_f32 v179, 0x3ee437d1, v165, -v187
	s_delay_alu instid0(VALU_DEP_1) | instskip(NEXT) | instid1(VALU_DEP_1)
	v_dual_mul_f32 v241, 0xbf59a7d5, v227 :: v_dual_add_f32 v68, v179, v68
	v_dual_add_f32 v75, v177, v75 :: v_dual_fmamk_f32 v178, v167, 0xbf06c442, v241
	v_fma_f32 v177, 0xbf59a7d5, v165, -v240
	v_mul_f32_e32 v225, 0x3f6eb680, v227
	v_mul_f32_e32 v220, 0xbeb8f4ab, v221
	s_delay_alu instid0(VALU_DEP_3) | instskip(SKIP_2) | instid1(VALU_DEP_2)
	v_dual_add_f32 v65, v178, v65 :: v_dual_add_f32 v64, v177, v64
	v_fmamk_f32 v177, v167, 0x3f65296c, v192
	v_fma_f32 v178, 0x3dbcf732, v165, -v200
	v_add_f32_e32 v69, v177, v69
	v_mul_f32_e32 v177, 0x3f4c4adb, v221
	s_delay_alu instid0(VALU_DEP_3) | instskip(NEXT) | instid1(VALU_DEP_2)
	v_add_f32_e32 v189, v178, v70
	v_fma_f32 v178, 0xbf1a4643, v165, -v177
	s_delay_alu instid0(VALU_DEP_1) | instskip(SKIP_3) | instid1(VALU_DEP_3)
	v_add_f32_e32 v72, v178, v72
	v_add_f32_e32 v178, v102, v100
	v_fmamk_f32 v70, v167, 0xbf7ee86f, v205
	v_mul_f32_e32 v216, 0xbf06c442, v232
	v_fma_f32 v247, 0xbf1a4643, v178, -v230
	s_delay_alu instid0(VALU_DEP_3) | instskip(SKIP_1) | instid1(VALU_DEP_4)
	v_dual_add_f32 v244, v70, v71 :: v_dual_fmamk_f32 v71, v167, 0xbeb8f4ab, v225
	v_fma_f32 v70, 0x3f6eb680, v165, -v220
	v_fma_f32 v190, 0xbf59a7d5, v178, -v216
	s_delay_alu instid0(VALU_DEP_2) | instskip(SKIP_3) | instid1(VALU_DEP_2)
	v_dual_add_f32 v246, v71, v75 :: v_dual_add_f32 v245, v70, v74
	v_fma_f32 v70, 0xbf7ba420, v178, -v242
	v_mul_f32_e32 v183, 0xbf1a4643, v227
	v_fma_f32 v74, 0x3f6eb680, v178, -v196
	v_dual_add_f32 v64, v70, v64 :: v_dual_fmamk_f32 v179, v167, 0x3f4c4adb, v183
	s_delay_alu instid0(VALU_DEP_2) | instskip(SKIP_2) | instid1(VALU_DEP_4)
	v_add_f32_e32 v70, v74, v68
	v_dual_add_f32 v68, v190, v189 :: v_dual_mul_f32 v189, 0x3f2c7751, v232
	v_mul_f32_e32 v190, 0x3f3d2fb0, v233
	v_add_f32_e32 v73, v179, v73
	v_sub_f32_e32 v179, v100, v102
	s_delay_alu instid0(VALU_DEP_4) | instskip(SKIP_1) | instid1(VALU_DEP_2)
	v_fma_f32 v74, 0x3f3d2fb0, v178, -v189
	v_mul_f32_e32 v243, 0xbf7ba420, v233
	v_dual_fmamk_f32 v75, v179, 0x3eb8f4ab, v197 :: v_dual_add_f32 v74, v74, v72
	s_delay_alu instid0(VALU_DEP_2) | instskip(SKIP_1) | instid1(VALU_DEP_2)
	v_fmamk_f32 v71, v179, 0xbe3c28d5, v243
	v_add_f32_e32 v72, v247, v245
	v_add_f32_e32 v65, v71, v65
	s_delay_alu instid0(VALU_DEP_4) | instskip(SKIP_2) | instid1(VALU_DEP_2)
	v_add_f32_e32 v71, v75, v69
	v_fmamk_f32 v69, v179, 0xbf06c442, v219
	v_fmamk_f32 v75, v179, 0x3f2c7751, v190
	v_dual_fmamk_f32 v248, v179, 0xbf4c4adb, v231 :: v_dual_add_f32 v69, v69, v244
	s_delay_alu instid0(VALU_DEP_2) | instskip(NEXT) | instid1(VALU_DEP_2)
	v_add_f32_e32 v75, v75, v73
	v_add_f32_e32 v73, v248, v246
	s_and_saveexec_b32 s1, vcc_lo
	s_cbranch_execz .LBB0_17
; %bb.16:
	v_dual_add_f32 v79, v79, v77 :: v_dual_add_f32 v78, v78, v76
	s_delay_alu instid0(VALU_DEP_1) | instskip(SKIP_2) | instid1(VALU_DEP_3)
	v_dual_add_f32 v79, v97, v79 :: v_dual_add_f32 v78, v96, v78
	v_mul_f32_e32 v96, 0xbe3c28d5, v204
	v_mul_f32_e32 v97, 0xbf06c442, v204
	v_dual_add_f32 v79, v99, v79 :: v_dual_add_f32 v78, v98, v78
	s_delay_alu instid0(VALU_DEP_3) | instskip(SKIP_1) | instid1(VALU_DEP_3)
	v_fma_f32 v99, 0xbf7ba420, v202, -v96
	v_fmac_f32_e32 v96, 0xbf7ba420, v202
	v_dual_mul_f32 v98, 0xbf4c4adb, v204 :: v_dual_add_f32 v79, v81, v79
	s_delay_alu instid0(VALU_DEP_4) | instskip(NEXT) | instid1(VALU_DEP_4)
	v_add_f32_e32 v78, v80, v78
	v_add_f32_e32 v99, v76, v99
	s_delay_alu instid0(VALU_DEP_3) | instskip(NEXT) | instid1(VALU_DEP_3)
	v_dual_add_f32 v96, v76, v96 :: v_dual_add_f32 v79, v83, v79
	v_add_f32_e32 v78, v82, v78
	v_mul_f32_e32 v83, 0x3dbcf732, v202
	v_mul_f32_e32 v82, 0xbf7ee86f, v207
	s_delay_alu instid0(VALU_DEP_3) | instskip(NEXT) | instid1(VALU_DEP_3)
	v_dual_add_f32 v79, v105, v79 :: v_dual_add_f32 v78, v104, v78
	v_add_f32_e32 v83, v83, v222
	s_delay_alu instid0(VALU_DEP_2) | instskip(NEXT) | instid1(VALU_DEP_1)
	v_dual_add_f32 v79, v107, v79 :: v_dual_add_f32 v78, v106, v78
	v_dual_add_f32 v79, v101, v79 :: v_dual_add_f32 v78, v100, v78
	v_fma_f32 v100, 0xbf59a7d5, v202, -v97
	v_fmamk_f32 v101, v202, 0xbf1a4643, v98
	v_fma_f32 v98, 0xbf1a4643, v202, -v98
	s_delay_alu instid0(VALU_DEP_4) | instskip(NEXT) | instid1(VALU_DEP_4)
	v_dual_add_f32 v79, v103, v79 :: v_dual_add_f32 v78, v102, v78
	v_add_f32_e32 v100, v76, v100
	s_delay_alu instid0(VALU_DEP_4) | instskip(NEXT) | instid1(VALU_DEP_3)
	v_add_f32_e32 v101, v76, v101
	v_dual_add_f32 v79, v85, v79 :: v_dual_add_f32 v78, v84, v78
	s_delay_alu instid0(VALU_DEP_1) | instskip(SKIP_2) | instid1(VALU_DEP_3)
	v_dual_add_f32 v79, v87, v79 :: v_dual_add_f32 v78, v86, v78
	v_mul_f32_e32 v87, 0x3f3d2fb0, v202
	v_mul_f32_e32 v84, 0xbf65296c, v207
	v_dual_add_f32 v79, v93, v79 :: v_dual_add_f32 v78, v92, v78
	s_delay_alu instid0(VALU_DEP_3) | instskip(NEXT) | instid1(VALU_DEP_3)
	v_dual_mul_f32 v92, 0xbf06c442, v207 :: v_dual_add_f32 v87, v87, v214
	v_dual_mul_f32 v81, 0xbe8c1d8e, v202 :: v_dual_sub_f32 v84, v218, v84
	s_delay_alu instid0(VALU_DEP_3) | instskip(NEXT) | instid1(VALU_DEP_2)
	v_dual_add_f32 v79, v95, v79 :: v_dual_add_f32 v78, v94, v78
	v_dual_mul_f32 v80, 0xbf763a35, v207 :: v_dual_add_f32 v81, v81, v228
	s_delay_alu instid0(VALU_DEP_2) | instskip(NEXT) | instid1(VALU_DEP_3)
	v_dual_mul_f32 v94, 0xbf1a4643, v206 :: v_dual_add_f32 v79, v89, v79
	v_add_f32_e32 v78, v88, v78
	s_delay_alu instid0(VALU_DEP_3) | instskip(SKIP_1) | instid1(VALU_DEP_3)
	v_dual_sub_f32 v80, v229, v80 :: v_dual_mul_f32 v89, 0x3f6eb680, v202
	v_mul_f32_e32 v86, 0xbf2c7751, v207
	v_dual_add_f32 v79, v91, v79 :: v_dual_add_f32 v78, v90, v78
	s_delay_alu instid0(VALU_DEP_3) | instskip(NEXT) | instid1(VALU_DEP_4)
	v_dual_fmac_f32 v97, 0xbf59a7d5, v202 :: v_dual_add_f32 v102, v77, v80
	v_dual_mul_f32 v90, 0xbe3c28d5, v207 :: v_dual_add_f32 v89, v89, v212
	v_dual_add_f32 v105, v76, v83 :: v_dual_add_f32 v106, v77, v84
	s_delay_alu instid0(VALU_DEP_3) | instskip(NEXT) | instid1(VALU_DEP_3)
	v_dual_add_f32 v97, v76, v97 :: v_dual_sub_f32 v86, v215, v86
	v_fmamk_f32 v91, v206, 0xbf7ba420, v90
	v_fma_f32 v90, 0xbf7ba420, v206, -v90
	v_fmamk_f32 v93, v206, 0xbf59a7d5, v92
	v_fma_f32 v92, 0xbf59a7d5, v206, -v92
	v_fmamk_f32 v95, v207, 0x3f4c4adb, v94
	v_fmac_f32_e32 v94, 0xbf4c4adb, v207
	v_add_f32_e32 v204, v76, v87
	v_mul_f32_e32 v84, 0x3eb8f4ab, v133
	v_mul_f32_e32 v212, 0xbf763a35, v179
	v_add_f32_e32 v90, v77, v90
	v_dual_mul_f32 v88, 0xbeb8f4ab, v207 :: v_dual_add_f32 v93, v77, v93
	v_mul_f32_e32 v85, 0x3ee437d1, v202
	v_add_f32_e32 v91, v77, v91
	v_add_f32_e32 v92, v77, v92
	s_delay_alu instid0(VALU_DEP_4) | instskip(NEXT) | instid1(VALU_DEP_4)
	v_sub_f32_e32 v88, v213, v88
	v_dual_sub_f32 v82, v223, v82 :: v_dual_add_f32 v85, v85, v217
	v_add_f32_e32 v95, v77, v95
	v_dual_add_f32 v103, v76, v81 :: v_dual_add_f32 v202, v77, v86
	s_delay_alu instid0(VALU_DEP_3)
	v_dual_add_f32 v104, v77, v82 :: v_dual_add_f32 v107, v76, v85
	v_dual_add_f32 v80, v77, v88 :: v_dual_add_f32 v81, v76, v89
	;; [unrolled: 1-line block ×3, first 2 shown]
	v_dual_mul_f32 v79, 0x3f3d2fb0, v132 :: v_dual_add_f32 v98, v76, v98
	v_mul_f32_e32 v86, 0x3f65296c, v133
	v_mul_f32_e32 v88, 0xbf7ee86f, v135
	;; [unrolled: 1-line block ×3, first 2 shown]
	s_delay_alu instid0(VALU_DEP_4) | instskip(SKIP_2) | instid1(VALU_DEP_4)
	v_dual_add_f32 v79, v79, v208 :: v_dual_mul_f32 v120, 0xbeb8f4ab, v193
	v_mul_f32_e32 v208, 0x3f2c7751, v167
	v_mul_f32_e32 v87, 0x3f65296c, v156
	v_fma_f32 v83, 0x3f6eb680, v132, -v85
	s_delay_alu instid0(VALU_DEP_4) | instskip(SKIP_4) | instid1(VALU_DEP_4)
	v_add_f32_e32 v79, v79, v81
	v_mul_f32_e32 v81, 0x3ee437d1, v134
	v_dual_add_f32 v76, v119, v78 :: v_dual_fmac_f32 v85, 0x3f6eb680, v132
	v_mul_f32_e32 v206, 0xbe3c28d5, v154
	v_mul_f32_e32 v89, 0xbf7ee86f, v169
	v_dual_add_f32 v81, v81, v224 :: v_dual_mul_f32 v78, 0xbf2c7751, v133
	s_delay_alu instid0(VALU_DEP_4) | instskip(SKIP_2) | instid1(VALU_DEP_4)
	v_add_f32_e32 v85, v85, v96
	v_add_f32_e32 v83, v83, v99
	v_mul_f32_e32 v119, 0xbeb8f4ab, v146
	v_add_f32_e32 v79, v81, v79
	v_mul_f32_e32 v81, 0x3dbcf732, v138
	v_dual_sub_f32 v78, v209, v78 :: v_dual_mul_f32 v207, 0xbe3c28d5, v203
	v_mul_f32_e32 v209, 0x3f2c7751, v221
	v_mul_f32_e32 v213, 0xbf763a35, v232
	s_delay_alu instid0(VALU_DEP_4) | instskip(SKIP_1) | instid1(VALU_DEP_2)
	v_add_f32_e32 v81, v81, v234
	v_mul_f32_e32 v229, 0x3f7ee86f, v179
	v_add_f32_e32 v79, v81, v79
	v_mul_f32_e32 v81, 0xbe8c1d8e, v144
	s_delay_alu instid0(VALU_DEP_1) | instskip(NEXT) | instid1(VALU_DEP_1)
	v_add_f32_e32 v81, v81, v236
	v_dual_add_f32 v78, v78, v80 :: v_dual_add_f32 v79, v81, v79
	v_mul_f32_e32 v81, 0xbf1a4643, v152
	s_delay_alu instid0(VALU_DEP_1) | instskip(NEXT) | instid1(VALU_DEP_1)
	v_dual_mul_f32 v80, 0xbf65296c, v135 :: v_dual_add_f32 v81, v81, v238
	v_dual_sub_f32 v80, v226, v80 :: v_dual_add_f32 v79, v81, v79
	s_delay_alu instid0(VALU_DEP_1) | instskip(NEXT) | instid1(VALU_DEP_1)
	v_dual_add_f32 v78, v80, v78 :: v_dual_mul_f32 v81, 0xbf59a7d5, v165
	v_dual_mul_f32 v80, 0xbf7ee86f, v139 :: v_dual_add_f32 v81, v81, v240
	s_delay_alu instid0(VALU_DEP_1) | instskip(NEXT) | instid1(VALU_DEP_1)
	v_dual_sub_f32 v80, v235, v80 :: v_dual_add_f32 v81, v81, v79
	v_add_f32_e32 v78, v80, v78
	v_mul_f32_e32 v80, 0xbf763a35, v146
	s_delay_alu instid0(VALU_DEP_1) | instskip(NEXT) | instid1(VALU_DEP_1)
	v_dual_mul_f32 v79, 0xbf7ba420, v178 :: v_dual_sub_f32 v80, v237, v80
	v_add_f32_e32 v82, v79, v242
	s_delay_alu instid0(VALU_DEP_2) | instskip(SKIP_1) | instid1(VALU_DEP_1)
	v_add_f32_e32 v78, v80, v78
	v_mul_f32_e32 v80, 0xbf4c4adb, v154
	v_sub_f32_e32 v80, v239, v80
	s_delay_alu instid0(VALU_DEP_1) | instskip(SKIP_1) | instid1(VALU_DEP_1)
	v_add_f32_e32 v78, v80, v78
	v_mul_f32_e32 v80, 0xbf06c442, v167
	v_sub_f32_e32 v80, v241, v80
	s_delay_alu instid0(VALU_DEP_1) | instskip(SKIP_1) | instid1(VALU_DEP_1)
	v_add_f32_e32 v78, v80, v78
	v_mul_f32_e32 v80, 0xbe3c28d5, v179
	v_sub_f32_e32 v80, v243, v80
	s_delay_alu instid0(VALU_DEP_1) | instskip(SKIP_3) | instid1(VALU_DEP_3)
	v_dual_add_f32 v79, v80, v78 :: v_dual_add_f32 v78, v82, v81
	v_fmamk_f32 v80, v161, 0x3ee437d1, v86
	v_fma_f32 v81, 0x3ee437d1, v132, -v87
	v_fmamk_f32 v82, v173, 0x3dbcf732, v88
	v_dual_fmac_f32 v87, 0x3ee437d1, v132 :: v_dual_add_f32 v80, v80, v93
	v_mul_f32_e32 v93, 0x3f4c4adb, v139
	s_delay_alu instid0(VALU_DEP_4) | instskip(NEXT) | instid1(VALU_DEP_3)
	v_dual_add_f32 v81, v81, v100 :: v_dual_mul_f32 v100, 0x3f4c4adb, v181
	v_dual_add_f32 v87, v87, v97 :: v_dual_add_f32 v80, v82, v80
	v_fma_f32 v82, 0x3dbcf732, v134, -v89
	v_fmac_f32_e32 v89, 0x3dbcf732, v134
	v_mul_f32_e32 v97, 0xbf59a7d5, v186
	s_delay_alu instid0(VALU_DEP_3) | instskip(NEXT) | instid1(VALU_DEP_3)
	v_add_f32_e32 v81, v82, v81
	v_dual_fmamk_f32 v82, v186, 0xbf1a4643, v93 :: v_dual_add_f32 v87, v89, v87
	s_delay_alu instid0(VALU_DEP_1) | instskip(SKIP_1) | instid1(VALU_DEP_1)
	v_add_f32_e32 v80, v82, v80
	v_fma_f32 v82, 0xbf1a4643, v138, -v100
	v_add_f32_e32 v81, v82, v81
	v_fmamk_f32 v82, v198, 0x3f6eb680, v119
	s_delay_alu instid0(VALU_DEP_1) | instskip(SKIP_1) | instid1(VALU_DEP_1)
	v_add_f32_e32 v80, v82, v80
	v_fma_f32 v82, 0x3f6eb680, v144, -v120
	v_add_f32_e32 v81, v82, v81
	v_fmamk_f32 v82, v210, 0xbf7ba420, v206
	s_delay_alu instid0(VALU_DEP_1) | instskip(SKIP_2) | instid1(VALU_DEP_2)
	v_add_f32_e32 v80, v82, v80
	v_fma_f32 v82, 0xbf7ba420, v152, -v207
	v_fmac_f32_e32 v207, 0xbf7ba420, v152
	v_dual_add_f32 v81, v82, v81 :: v_dual_fmamk_f32 v82, v227, 0x3f3d2fb0, v208
	v_fma_f32 v88, 0x3dbcf732, v173, -v88
	s_delay_alu instid0(VALU_DEP_2) | instskip(SKIP_2) | instid1(VALU_DEP_2)
	v_add_f32_e32 v80, v82, v80
	v_fma_f32 v82, 0x3f3d2fb0, v165, -v209
	v_fmac_f32_e32 v209, 0x3f3d2fb0, v165
	v_dual_add_f32 v82, v82, v81 :: v_dual_fmamk_f32 v81, v233, 0xbe8c1d8e, v212
	s_delay_alu instid0(VALU_DEP_1) | instskip(SKIP_3) | instid1(VALU_DEP_3)
	v_add_f32_e32 v81, v81, v80
	v_fma_f32 v80, 0xbe8c1d8e, v178, -v213
	v_fma_f32 v86, 0x3ee437d1, v161, -v86
	v_fmac_f32_e32 v213, 0xbe8c1d8e, v178
	v_add_f32_e32 v80, v80, v82
	v_fmamk_f32 v82, v161, 0x3f6eb680, v84
	v_fma_f32 v84, 0x3f6eb680, v161, -v84
	v_add_f32_e32 v86, v86, v92
	v_mul_f32_e32 v92, 0xbf59a7d5, v132
	s_delay_alu instid0(VALU_DEP_4) | instskip(NEXT) | instid1(VALU_DEP_3)
	v_add_f32_e32 v82, v82, v91
	v_dual_mul_f32 v91, 0xbf06c442, v135 :: v_dual_add_f32 v86, v88, v86
	v_fma_f32 v88, 0xbf1a4643, v186, -v93
	s_delay_alu instid0(VALU_DEP_4) | instskip(NEXT) | instid1(VALU_DEP_2)
	v_dual_add_f32 v92, v92, v159 :: v_dual_mul_f32 v93, 0x3f3d2fb0, v134
	v_dual_fmamk_f32 v99, v173, 0xbf59a7d5, v91 :: v_dual_add_f32 v86, v88, v86
	v_fma_f32 v88, 0x3f6eb680, v198, -v119
	s_delay_alu instid0(VALU_DEP_2) | instskip(NEXT) | instid1(VALU_DEP_4)
	v_dual_mul_f32 v119, 0xbeb8f4ab, v169 :: v_dual_add_f32 v82, v99, v82
	v_dual_mul_f32 v99, 0xbf06c442, v169 :: v_dual_add_f32 v92, v92, v103
	v_mul_f32_e32 v103, 0xbeb8f4ab, v154
	v_mul_f32_e32 v169, 0xbf2c7751, v203
	v_add_f32_e32 v93, v93, v171
	s_delay_alu instid0(VALU_DEP_4) | instskip(SKIP_1) | instid1(VALU_DEP_3)
	v_fma_f32 v214, 0xbf59a7d5, v134, -v99
	v_fmac_f32_e32 v99, 0xbf59a7d5, v134
	v_dual_sub_f32 v103, v195, v103 :: v_dual_add_f32 v92, v93, v92
	s_delay_alu instid0(VALU_DEP_3) | instskip(SKIP_1) | instid1(VALU_DEP_4)
	v_add_f32_e32 v83, v214, v83
	v_mul_f32_e32 v214, 0x3f2c7751, v139
	v_dual_fmac_f32 v100, 0xbf1a4643, v138 :: v_dual_add_f32 v85, v99, v85
	v_mul_f32_e32 v99, 0x3dbcf732, v198
	s_delay_alu instid0(VALU_DEP_3) | instskip(NEXT) | instid1(VALU_DEP_3)
	v_dual_add_f32 v86, v88, v86 :: v_dual_fmamk_f32 v215, v186, 0x3f3d2fb0, v214
	v_add_f32_e32 v87, v100, v87
	v_fma_f32 v88, 0xbf7ba420, v210, -v206
	v_mul_f32_e32 v100, 0x3f763a35, v156
	v_mul_f32_e32 v93, 0x3ee437d1, v138
	v_dual_add_f32 v82, v215, v82 :: v_dual_mul_f32 v215, 0x3f2c7751, v181
	s_delay_alu instid0(VALU_DEP_4) | instskip(SKIP_1) | instid1(VALU_DEP_4)
	v_add_f32_e32 v86, v88, v86
	v_fma_f32 v88, 0x3f3d2fb0, v227, -v208
	v_dual_mul_f32 v156, 0xbf06c442, v181 :: v_dual_add_f32 v93, v93, v184
	s_delay_alu instid0(VALU_DEP_4) | instskip(SKIP_1) | instid1(VALU_DEP_4)
	v_fma_f32 v217, 0x3f3d2fb0, v138, -v215
	v_fmac_f32_e32 v215, 0x3f3d2fb0, v138
	v_dual_add_f32 v86, v88, v86 :: v_dual_mul_f32 v181, 0x3ee437d1, v233
	s_delay_alu instid0(VALU_DEP_3) | instskip(SKIP_1) | instid1(VALU_DEP_1)
	v_add_f32_e32 v83, v217, v83
	v_mul_f32_e32 v217, 0xbf4c4adb, v146
	v_dual_add_f32 v85, v215, v85 :: v_dual_fmamk_f32 v218, v198, 0xbf1a4643, v217
	s_delay_alu instid0(VALU_DEP_1) | instskip(SKIP_1) | instid1(VALU_DEP_1)
	v_add_f32_e32 v82, v218, v82
	v_mul_f32_e32 v218, 0xbf4c4adb, v193
	v_fma_f32 v222, 0xbf1a4643, v144, -v218
	s_delay_alu instid0(VALU_DEP_1) | instskip(SKIP_2) | instid1(VALU_DEP_3)
	v_dual_fmac_f32 v218, 0xbf1a4643, v144 :: v_dual_add_f32 v83, v222, v83
	v_mul_f32_e32 v222, 0x3f65296c, v154
	v_fmac_f32_e32 v120, 0x3f6eb680, v144
	v_dual_mul_f32 v234, 0x3f7ee86f, v232 :: v_dual_add_f32 v85, v218, v85
	s_delay_alu instid0(VALU_DEP_3) | instskip(NEXT) | instid1(VALU_DEP_3)
	v_fmamk_f32 v223, v210, 0x3ee437d1, v222
	v_add_f32_e32 v87, v120, v87
	v_mul_f32_e32 v120, 0xbf7ba420, v227
	s_delay_alu instid0(VALU_DEP_3)
	v_dual_add_f32 v82, v223, v82 :: v_dual_mul_f32 v223, 0x3f65296c, v203
	v_add_f32_e32 v84, v84, v90
	v_fma_f32 v90, 0xbf59a7d5, v173, -v91
	v_add_f32_e32 v87, v207, v87
	v_mul_f32_e32 v91, 0x3f2c7751, v135
	v_fma_f32 v224, 0x3ee437d1, v152, -v223
	v_fmac_f32_e32 v223, 0x3ee437d1, v152
	v_add_f32_e32 v84, v90, v84
	v_fma_f32 v90, 0x3f3d2fb0, v186, -v214
	v_add_f32_e32 v88, v209, v87
	v_add_f32_e32 v83, v224, v83
	v_mul_f32_e32 v224, 0xbf763a35, v167
	v_dual_mul_f32 v96, 0xbe8c1d8e, v161 :: v_dual_sub_f32 v91, v176, v91
	v_add_f32_e32 v84, v90, v84
	v_fma_f32 v90, 0xbf1a4643, v198, -v217
	s_delay_alu instid0(VALU_DEP_4)
	v_fmamk_f32 v226, v227, 0xbe8c1d8e, v224
	v_add_f32_e32 v85, v223, v85
	v_mul_f32_e32 v161, 0x3f7ee86f, v193
	v_mul_f32_e32 v186, 0x3f65296c, v232
	v_add_f32_e32 v84, v90, v84
	v_add_f32_e32 v82, v226, v82
	v_mul_f32_e32 v226, 0xbf763a35, v221
	v_fma_f32 v90, 0x3ee437d1, v210, -v222
	s_delay_alu instid0(VALU_DEP_2) | instskip(NEXT) | instid1(VALU_DEP_2)
	v_fma_f32 v228, 0xbe8c1d8e, v165, -v226
	v_add_f32_e32 v84, v90, v84
	v_fma_f32 v90, 0xbe8c1d8e, v227, -v224
	v_fmac_f32_e32 v226, 0xbe8c1d8e, v165
	s_delay_alu instid0(VALU_DEP_4) | instskip(NEXT) | instid1(VALU_DEP_1)
	v_dual_add_f32 v228, v228, v83 :: v_dual_fmamk_f32 v83, v233, 0x3dbcf732, v229
	v_add_f32_e32 v83, v83, v82
	v_fma_f32 v82, 0x3dbcf732, v178, -v234
	v_fma_f32 v87, 0xbe8c1d8e, v233, -v212
	s_delay_alu instid0(VALU_DEP_1) | instskip(SKIP_3) | instid1(VALU_DEP_2)
	v_dual_add_f32 v82, v82, v228 :: v_dual_add_f32 v87, v87, v86
	v_add_f32_e32 v86, v213, v88
	v_fmamk_f32 v88, v133, 0xbf763a35, v96
	v_fmac_f32_e32 v96, 0x3f763a35, v133
	v_dual_add_f32 v88, v88, v95 :: v_dual_mul_f32 v95, 0x3f6eb680, v173
	v_add_f32_e32 v84, v90, v84
	v_add_f32_e32 v90, v226, v85
	v_mul_f32_e32 v173, 0xbe3c28d5, v221
	v_fma_f32 v85, 0x3dbcf732, v233, -v229
	v_dual_fmamk_f32 v89, v135, 0x3eb8f4ab, v95 :: v_dual_add_f32 v94, v96, v94
	v_fmac_f32_e32 v95, 0xbeb8f4ab, v135
	s_delay_alu instid0(VALU_DEP_3) | instskip(NEXT) | instid1(VALU_DEP_3)
	v_add_f32_e32 v85, v85, v84
	v_dual_add_f32 v88, v89, v88 :: v_dual_fmamk_f32 v89, v139, 0x3f06c442, v97
	s_delay_alu instid0(VALU_DEP_1) | instskip(SKIP_1) | instid1(VALU_DEP_1)
	v_dual_fmac_f32 v97, 0xbf06c442, v139 :: v_dual_add_f32 v88, v89, v88
	v_fmamk_f32 v89, v146, 0xbf7ee86f, v99
	v_dual_add_f32 v88, v89, v88 :: v_dual_fmamk_f32 v89, v132, 0xbe8c1d8e, v100
	v_fmac_f32_e32 v234, 0x3dbcf732, v178
	v_fmac_f32_e32 v99, 0x3f7ee86f, v146
	s_delay_alu instid0(VALU_DEP_3) | instskip(SKIP_1) | instid1(VALU_DEP_4)
	v_add_f32_e32 v89, v89, v101
	v_mul_f32_e32 v101, 0x3f3d2fb0, v210
	v_add_f32_e32 v84, v234, v90
	s_delay_alu instid0(VALU_DEP_2) | instskip(NEXT) | instid1(VALU_DEP_1)
	v_fmamk_f32 v90, v154, 0x3f2c7751, v101
	v_dual_fmac_f32 v101, 0xbf2c7751, v154 :: v_dual_add_f32 v88, v90, v88
	v_fmamk_f32 v90, v134, 0x3f6eb680, v119
	s_delay_alu instid0(VALU_DEP_1) | instskip(SKIP_1) | instid1(VALU_DEP_2)
	v_dual_add_f32 v89, v90, v89 :: v_dual_fmamk_f32 v90, v167, 0x3e3c28d5, v120
	v_fmac_f32_e32 v120, 0xbe3c28d5, v167
	v_add_f32_e32 v88, v90, v88
	v_fmamk_f32 v90, v138, 0xbf59a7d5, v156
	s_delay_alu instid0(VALU_DEP_1) | instskip(NEXT) | instid1(VALU_DEP_1)
	v_dual_add_f32 v89, v90, v89 :: v_dual_fmamk_f32 v90, v144, 0x3dbcf732, v161
	v_dual_add_f32 v89, v90, v89 :: v_dual_fmamk_f32 v90, v152, 0x3f3d2fb0, v169
	s_delay_alu instid0(VALU_DEP_1) | instskip(NEXT) | instid1(VALU_DEP_1)
	v_dual_add_f32 v89, v90, v89 :: v_dual_fmamk_f32 v90, v165, 0xbf7ba420, v173
	v_dual_add_f32 v90, v90, v89 :: v_dual_fmamk_f32 v89, v179, 0xbf65296c, v181
	v_dual_fmac_f32 v181, 0x3f65296c, v179 :: v_dual_add_f32 v94, v95, v94
	s_delay_alu instid0(VALU_DEP_2) | instskip(NEXT) | instid1(VALU_DEP_2)
	v_dual_add_f32 v89, v89, v88 :: v_dual_fmamk_f32 v88, v178, 0x3ee437d1, v186
	v_dual_add_f32 v94, v97, v94 :: v_dual_mul_f32 v97, 0xbf1a4643, v165
	s_delay_alu instid0(VALU_DEP_2) | instskip(SKIP_1) | instid1(VALU_DEP_3)
	v_add_f32_e32 v88, v88, v90
	v_mul_f32_e32 v90, 0x3f06c442, v133
	v_dual_add_f32 v97, v97, v177 :: v_dual_add_f32 v94, v99, v94
	s_delay_alu instid0(VALU_DEP_2) | instskip(NEXT) | instid1(VALU_DEP_1)
	v_dual_mul_f32 v99, 0x3f2c7751, v179 :: v_dual_sub_f32 v90, v163, v90
	v_dual_add_f32 v94, v101, v94 :: v_dual_sub_f32 v99, v190, v99
	s_delay_alu instid0(VALU_DEP_2) | instskip(NEXT) | instid1(VALU_DEP_1)
	v_add_f32_e32 v90, v90, v102
	v_dual_add_f32 v90, v91, v90 :: v_dual_mul_f32 v91, 0xbf65296c, v139
	s_delay_alu instid0(VALU_DEP_1) | instskip(SKIP_1) | instid1(VALU_DEP_2)
	v_sub_f32_e32 v91, v188, v91
	v_fma_f32 v100, 0xbe8c1d8e, v132, -v100
	v_add_f32_e32 v90, v91, v90
	v_mul_f32_e32 v91, 0xbe3c28d5, v146
	s_delay_alu instid0(VALU_DEP_3) | instskip(SKIP_1) | instid1(VALU_DEP_3)
	v_add_f32_e32 v96, v100, v98
	v_fma_f32 v98, 0x3f6eb680, v134, -v119
	v_sub_f32_e32 v91, v199, v91
	s_delay_alu instid0(VALU_DEP_1) | instskip(SKIP_1) | instid1(VALU_DEP_1)
	v_dual_add_f32 v95, v98, v96 :: v_dual_add_f32 v90, v91, v90
	v_mul_f32_e32 v91, 0x3f7ee86f, v154
	v_sub_f32_e32 v91, v211, v91
	v_fma_f32 v96, 0xbf59a7d5, v138, -v156
	s_delay_alu instid0(VALU_DEP_2) | instskip(SKIP_2) | instid1(VALU_DEP_4)
	v_dual_add_f32 v90, v91, v90 :: v_dual_add_f32 v91, v93, v92
	v_mul_f32_e32 v92, 0xbf7ba420, v144
	v_mul_f32_e32 v93, 0xbeb8f4ab, v167
	v_add_f32_e32 v95, v96, v95
	v_fma_f32 v96, 0x3dbcf732, v144, -v161
	s_delay_alu instid0(VALU_DEP_3) | instskip(NEXT) | instid1(VALU_DEP_2)
	v_dual_add_f32 v92, v92, v194 :: v_dual_sub_f32 v93, v225, v93
	v_add_f32_e32 v95, v96, v95
	v_fma_f32 v96, 0x3f3d2fb0, v152, -v169
	s_delay_alu instid0(VALU_DEP_3) | instskip(NEXT) | instid1(VALU_DEP_4)
	v_dual_add_f32 v91, v92, v91 :: v_dual_mul_f32 v92, 0x3dbcf732, v152
	v_dual_add_f32 v90, v93, v90 :: v_dual_mul_f32 v93, 0xbf4c4adb, v179
	s_delay_alu instid0(VALU_DEP_3) | instskip(SKIP_1) | instid1(VALU_DEP_4)
	v_add_f32_e32 v95, v96, v95
	v_fma_f32 v96, 0xbf7ba420, v165, -v173
	v_add_f32_e32 v92, v92, v201
	s_delay_alu instid0(VALU_DEP_4) | instskip(NEXT) | instid1(VALU_DEP_2)
	v_dual_mul_f32 v100, 0xbf59a7d5, v152 :: v_dual_sub_f32 v93, v231, v93
	v_dual_add_f32 v91, v92, v91 :: v_dual_mul_f32 v92, 0x3f6eb680, v165
	s_delay_alu instid0(VALU_DEP_1) | instskip(NEXT) | instid1(VALU_DEP_1)
	v_add_f32_e32 v92, v92, v220
	v_dual_add_f32 v92, v92, v91 :: v_dual_mul_f32 v91, 0xbf1a4643, v178
	s_delay_alu instid0(VALU_DEP_1) | instskip(SKIP_1) | instid1(VALU_DEP_2)
	v_add_f32_e32 v102, v91, v230
	v_add_f32_e32 v91, v93, v90
	v_dual_mul_f32 v93, 0x3e3c28d5, v135 :: v_dual_add_f32 v90, v102, v92
	v_mul_f32_e32 v92, 0xbf4c4adb, v133
	s_delay_alu instid0(VALU_DEP_2) | instskip(NEXT) | instid1(VALU_DEP_2)
	v_dual_sub_f32 v93, v158, v93 :: v_dual_mul_f32 v102, 0xbf1a4643, v132
	v_sub_f32_e32 v92, v148, v92
	s_delay_alu instid0(VALU_DEP_1) | instskip(NEXT) | instid1(VALU_DEP_1)
	v_add_f32_e32 v92, v92, v106
	v_dual_add_f32 v92, v93, v92 :: v_dual_mul_f32 v93, 0x3f763a35, v139
	s_delay_alu instid0(VALU_DEP_1) | instskip(NEXT) | instid1(VALU_DEP_1)
	v_sub_f32_e32 v93, v172, v93
	v_dual_add_f32 v92, v93, v92 :: v_dual_mul_f32 v93, 0x3f2c7751, v146
	s_delay_alu instid0(VALU_DEP_1) | instskip(NEXT) | instid1(VALU_DEP_1)
	v_sub_f32_e32 v93, v185, v93
	v_add_f32_e32 v92, v93, v92
	s_delay_alu instid0(VALU_DEP_1) | instskip(NEXT) | instid1(VALU_DEP_1)
	v_dual_add_f32 v92, v103, v92 :: v_dual_mul_f32 v103, 0xbf7ee86f, v167
	v_sub_f32_e32 v103, v205, v103
	s_delay_alu instid0(VALU_DEP_1) | instskip(NEXT) | instid1(VALU_DEP_1)
	v_dual_add_f32 v92, v103, v92 :: v_dual_mul_f32 v103, 0xbf06c442, v179
	v_sub_f32_e32 v103, v219, v103
	v_add_f32_e32 v102, v102, v147
	s_delay_alu instid0(VALU_DEP_1) | instskip(SKIP_1) | instid1(VALU_DEP_1)
	v_add_f32_e32 v93, v102, v107
	v_mul_f32_e32 v107, 0xbf1a4643, v134
	v_dual_mul_f32 v102, 0xbf7ba420, v134 :: v_dual_add_f32 v107, v107, v145
	s_delay_alu instid0(VALU_DEP_1) | instskip(NEXT) | instid1(VALU_DEP_1)
	v_add_f32_e32 v102, v102, v155
	v_dual_add_f32 v93, v102, v93 :: v_dual_mul_f32 v102, 0xbe8c1d8e, v138
	s_delay_alu instid0(VALU_DEP_1) | instskip(NEXT) | instid1(VALU_DEP_1)
	v_add_f32_e32 v102, v102, v168
	v_dual_add_f32 v93, v102, v93 :: v_dual_mul_f32 v102, 0x3f3d2fb0, v144
	;; [unrolled: 3-line block ×3, first 2 shown]
	s_delay_alu instid0(VALU_DEP_1) | instskip(NEXT) | instid1(VALU_DEP_1)
	v_add_f32_e32 v102, v102, v191
	v_add_f32_e32 v93, v102, v93
	v_mul_f32_e32 v102, 0x3dbcf732, v165
	s_delay_alu instid0(VALU_DEP_1) | instskip(NEXT) | instid1(VALU_DEP_1)
	v_add_f32_e32 v102, v102, v200
	v_dual_add_f32 v102, v102, v93 :: v_dual_mul_f32 v93, 0xbf59a7d5, v178
	s_delay_alu instid0(VALU_DEP_1) | instskip(SKIP_1) | instid1(VALU_DEP_2)
	v_add_f32_e32 v106, v93, v216
	v_add_f32_e32 v93, v103, v92
	v_dual_mul_f32 v103, 0xbf4c4adb, v135 :: v_dual_add_f32 v92, v106, v102
	s_delay_alu instid0(VALU_DEP_1) | instskip(NEXT) | instid1(VALU_DEP_1)
	v_dual_mul_f32 v106, 0x3dbcf732, v132 :: v_dual_sub_f32 v103, v150, v103
	v_add_f32_e32 v106, v106, v140
	s_delay_alu instid0(VALU_DEP_1) | instskip(NEXT) | instid1(VALU_DEP_1)
	v_add_f32_e32 v106, v106, v204
	v_add_f32_e32 v106, v107, v106
	v_mul_f32_e32 v107, 0xbf7ba420, v138
	s_delay_alu instid0(VALU_DEP_1) | instskip(NEXT) | instid1(VALU_DEP_1)
	v_add_f32_e32 v107, v107, v153
	v_dual_add_f32 v106, v107, v106 :: v_dual_mul_f32 v107, 0xbf59a7d5, v144
	s_delay_alu instid0(VALU_DEP_1) | instskip(NEXT) | instid1(VALU_DEP_1)
	v_add_f32_e32 v107, v107, v166
	v_dual_add_f32 v106, v107, v106 :: v_dual_mul_f32 v107, 0xbe3c28d5, v133
	s_delay_alu instid0(VALU_DEP_1) | instskip(SKIP_1) | instid1(VALU_DEP_1)
	v_sub_f32_e32 v107, v137, v107
	v_mul_f32_e32 v137, 0xbe8c1d8e, v152
	v_dual_mul_f32 v102, 0xbf7ee86f, v133 :: v_dual_add_f32 v137, v137, v175
	s_delay_alu instid0(VALU_DEP_1) | instskip(NEXT) | instid1(VALU_DEP_4)
	v_sub_f32_e32 v102, v142, v102
	v_dual_add_f32 v104, v107, v104 :: v_dual_mul_f32 v107, 0x3f763a35, v135
	s_delay_alu instid0(VALU_DEP_1) | instskip(NEXT) | instid1(VALU_DEP_1)
	v_dual_add_f32 v102, v102, v202 :: v_dual_sub_f32 v107, v143, v107
	v_dual_add_f32 v102, v103, v102 :: v_dual_mul_f32 v103, 0xbe3c28d5, v139
	s_delay_alu instid0(VALU_DEP_1) | instskip(NEXT) | instid1(VALU_DEP_1)
	v_sub_f32_e32 v103, v160, v103
	v_add_f32_e32 v102, v103, v102
	v_mul_f32_e32 v103, 0x3f06c442, v146
	s_delay_alu instid0(VALU_DEP_1) | instskip(NEXT) | instid1(VALU_DEP_1)
	v_sub_f32_e32 v103, v170, v103
	v_add_f32_e32 v102, v103, v102
	v_mul_f32_e32 v103, 0x3f763a35, v154
	s_delay_alu instid0(VALU_DEP_1) | instskip(NEXT) | instid1(VALU_DEP_1)
	v_sub_f32_e32 v103, v182, v103
	v_dual_add_f32 v102, v103, v102 :: v_dual_mul_f32 v103, 0x3f65296c, v167
	s_delay_alu instid0(VALU_DEP_1) | instskip(NEXT) | instid1(VALU_DEP_1)
	v_sub_f32_e32 v103, v192, v103
	v_add_f32_e32 v102, v103, v102
	v_dual_add_f32 v103, v137, v106 :: v_dual_add_f32 v104, v107, v104
	v_mul_f32_e32 v106, 0x3eb8f4ab, v139
	v_mul_f32_e32 v107, 0x3ee437d1, v165
	s_delay_alu instid0(VALU_DEP_2) | instskip(NEXT) | instid1(VALU_DEP_1)
	v_dual_mul_f32 v137, 0xbf7ba420, v132 :: v_dual_sub_f32 v106, v151, v106
	v_dual_add_f32 v107, v107, v187 :: v_dual_add_f32 v136, v137, v136
	v_mul_f32_e32 v137, 0x3eb8f4ab, v179
	s_delay_alu instid0(VALU_DEP_2) | instskip(NEXT) | instid1(VALU_DEP_4)
	v_add_f32_e32 v103, v107, v103
	v_dual_mul_f32 v107, 0xbf06c442, v154 :: v_dual_add_f32 v104, v106, v104
	s_delay_alu instid0(VALU_DEP_4) | instskip(NEXT) | instid1(VALU_DEP_4)
	v_dual_mul_f32 v106, 0xbf65296c, v146 :: v_dual_add_f32 v105, v136, v105
	v_sub_f32_e32 v137, v197, v137
	s_delay_alu instid0(VALU_DEP_3) | instskip(NEXT) | instid1(VALU_DEP_3)
	v_sub_f32_e32 v107, v174, v107
	v_sub_f32_e32 v106, v162, v106
	s_delay_alu instid0(VALU_DEP_1) | instskip(SKIP_1) | instid1(VALU_DEP_2)
	v_add_f32_e32 v104, v106, v104
	v_mul_f32_e32 v106, 0xbe8c1d8e, v134
	v_add_f32_e32 v104, v107, v104
	s_delay_alu instid0(VALU_DEP_2) | instskip(NEXT) | instid1(VALU_DEP_1)
	v_dual_add_f32 v106, v106, v141 :: v_dual_mul_f32 v107, 0x3f4c4adb, v167
	v_dual_add_f32 v105, v106, v105 :: v_dual_mul_f32 v106, 0x3f6eb680, v138
	s_delay_alu instid0(VALU_DEP_1) | instskip(NEXT) | instid1(VALU_DEP_1)
	v_dual_sub_f32 v107, v183, v107 :: v_dual_add_f32 v106, v106, v149
	v_add_f32_e32 v98, v107, v104
	v_add_f32_e32 v104, v120, v94
	v_mul_lo_u16 v94, v123, 17
	s_delay_alu instid0(VALU_DEP_4) | instskip(SKIP_1) | instid1(VALU_DEP_3)
	v_dual_add_f32 v105, v106, v105 :: v_dual_mul_f32 v106, 0x3ee437d1, v144
	v_add_f32_e32 v100, v100, v164
	v_and_b32_e32 v94, 0xffff, v94
	s_delay_alu instid0(VALU_DEP_3) | instskip(SKIP_1) | instid1(VALU_DEP_3)
	v_add_f32_e32 v106, v106, v157
	v_mul_f32_e32 v136, 0x3f6eb680, v178
	v_lshlrev_b32_e32 v107, 3, v94
	s_delay_alu instid0(VALU_DEP_2) | instskip(SKIP_1) | instid1(VALU_DEP_2)
	v_dual_add_f32 v105, v106, v105 :: v_dual_add_f32 v136, v136, v196
	v_fma_f32 v106, 0x3ee437d1, v178, -v186
	v_add_f32_e32 v100, v100, v105
	v_add_f32_e32 v105, v96, v95
	s_delay_alu instid0(VALU_DEP_4) | instskip(NEXT) | instid1(VALU_DEP_3)
	v_dual_add_f32 v95, v137, v102 :: v_dual_add_f32 v94, v136, v103
	v_dual_add_f32 v100, v97, v100 :: v_dual_mul_f32 v97, 0x3f3d2fb0, v178
	s_delay_alu instid0(VALU_DEP_1) | instskip(SKIP_2) | instid1(VALU_DEP_3)
	v_add_f32_e32 v101, v97, v189
	v_add_f32_e32 v97, v99, v98
	v_dual_add_f32 v99, v181, v104 :: v_dual_add_f32 v98, v106, v105
	v_add_f32_e32 v96, v101, v100
	ds_store_2addr_b64 v107, v[76:77], v[78:79] offset1:1
	ds_store_2addr_b64 v107, v[94:95], v[92:93] offset0:2 offset1:3
	ds_store_2addr_b64 v107, v[96:97], v[90:91] offset0:4 offset1:5
	;; [unrolled: 1-line block ×7, first 2 shown]
	ds_store_b64 v107, v[64:65] offset:128
.LBB0_17:
	s_wait_alu 0xfffe
	s_or_b32 exec_lo, exec_lo, s1
	v_add_nc_u32_e32 v101, 0x800, v124
	global_wb scope:SCOPE_SE
	s_wait_dscnt 0x0
	s_barrier_signal -1
	s_barrier_wait -1
	global_inv scope:SCOPE_SE
	ds_load_2addr_b64 v[77:80], v101 offset0:84 offset1:254
	v_add_nc_u32_e32 v76, 0x1e00, v124
	v_add_nc_u32_e32 v102, 0x2800, v124
	;; [unrolled: 1-line block ×3, first 2 shown]
	s_wait_dscnt 0x0
	v_mul_f32_e32 v105, v25, v80
	v_mul_f32_e32 v25, v25, v79
	ds_load_2addr_b64 v[81:84], v76 offset0:60 offset1:230
	ds_load_2addr_b64 v[85:88], v102 offset0:80 offset1:250
	;; [unrolled: 1-line block ×3, first 2 shown]
	v_add_nc_u32_e32 v104, 0x3400, v124
	s_wait_dscnt 0x2
	v_mul_f32_e32 v106, v27, v82
	v_mul_f32_e32 v27, v27, v81
	s_wait_dscnt 0x0
	v_mul_f32_e32 v119, v21, v90
	ds_load_2addr_b64 v[93:96], v104 offset0:36 offset1:206
	ds_load_2addr_b64 v[97:100], v124 offset1:170
	v_dual_mul_f32 v21, v21, v89 :: v_dual_mul_f32 v120, v23, v84
	v_mul_f32_e32 v107, v116, v88
	v_mul_f32_e32 v23, v23, v83
	;; [unrolled: 1-line block ×3, first 2 shown]
	v_dual_fmac_f32 v106, v26, v81 :: v_dual_fmac_f32 v105, v24, v79
	v_fma_f32 v24, v24, v80, -v25
	v_fma_f32 v25, v26, v82, -v27
	v_fmac_f32_e32 v119, v20, v89
	v_fma_f32 v79, v20, v90, -v21
	v_fmac_f32_e32 v120, v22, v83
	v_dual_fmac_f32 v107, v115, v87 :: v_dual_mul_f32 v80, v17, v92
	v_fma_f32 v20, v22, v84, -v23
	v_fma_f32 v26, v115, v88, -v116
	v_mul_f32_e32 v81, v19, v86
	v_mul_f32_e32 v17, v17, v91
	s_wait_dscnt 0x1
	v_dual_mul_f32 v27, v114, v94 :: v_dual_fmac_f32 v80, v16, v91
	v_dual_mul_f32 v84, v112, v96 :: v_dual_mul_f32 v21, v114, v93
	s_delay_alu instid0(VALU_DEP_2) | instskip(SKIP_2) | instid1(VALU_DEP_3)
	v_dual_sub_f32 v22, v24, v26 :: v_dual_fmac_f32 v27, v113, v93
	s_wait_dscnt 0x0
	v_sub_f32_e32 v88, v100, v20
	v_fmac_f32_e32 v84, v111, v95
	v_mul_f32_e32 v19, v19, v85
	v_fma_f32 v82, v16, v92, -v17
	v_sub_f32_e32 v87, v119, v27
	s_delay_alu instid0(VALU_DEP_4) | instskip(NEXT) | instid1(VALU_DEP_4)
	v_dual_sub_f32 v25, v98, v25 :: v_dual_sub_f32 v84, v80, v84
	v_fma_f32 v83, v18, v86, -v19
	v_sub_f32_e32 v86, v99, v120
	v_fma_f32 v21, v113, v94, -v21
	v_mul_f32_e32 v17, v112, v95
	v_fma_f32 v26, v98, 2.0, -v25
	v_fma_f32 v24, v24, 2.0, -v22
	;; [unrolled: 1-line block ×3, first 2 shown]
	v_sub_f32_e32 v23, v97, v106
	v_dual_sub_f32 v89, v79, v21 :: v_dual_sub_f32 v92, v78, v83
	v_fmac_f32_e32 v81, v18, v85
	v_fma_f32 v85, v111, v96, -v17
	s_delay_alu instid0(VALU_DEP_4)
	v_dual_add_f32 v20, v23, v22 :: v_dual_sub_f32 v19, v105, v107
	v_sub_f32_e32 v17, v26, v24
	v_fma_f32 v24, v119, 2.0, -v87
	v_fma_f32 v90, v100, 2.0, -v88
	v_fma_f32 v79, v79, 2.0, -v89
	v_sub_f32_e32 v91, v77, v81
	s_delay_alu instid0(VALU_DEP_4)
	v_dual_sub_f32 v83, v82, v85 :: v_dual_sub_f32 v22, v27, v24
	v_fma_f32 v18, v97, 2.0, -v23
	v_fma_f32 v24, v23, 2.0, -v20
	v_sub_f32_e32 v23, v90, v79
	v_add_f32_e32 v79, v86, v89
	v_fma_f32 v89, v78, 2.0, -v92
	v_fma_f32 v78, v80, 2.0, -v84
	v_sub_f32_e32 v84, v92, v84
	v_fma_f32 v16, v105, 2.0, -v19
	v_fma_f32 v85, v77, 2.0, -v91
	;; [unrolled: 1-line block ×3, first 2 shown]
	v_sub_f32_e32 v80, v88, v87
	s_delay_alu instid0(VALU_DEP_4) | instskip(NEXT) | instid1(VALU_DEP_4)
	v_dual_sub_f32 v21, v25, v19 :: v_dual_sub_f32 v16, v18, v16
	v_sub_f32_e32 v81, v85, v78
	s_delay_alu instid0(VALU_DEP_4) | instskip(SKIP_1) | instid1(VALU_DEP_4)
	v_dual_sub_f32 v82, v89, v82 :: v_dual_add_f32 v83, v91, v83
	v_fma_f32 v19, v26, 2.0, -v17
	v_fma_f32 v18, v18, 2.0, -v16
	;; [unrolled: 1-line block ×11, first 2 shown]
	global_wb scope:SCOPE_SE
	s_barrier_signal -1
	s_barrier_wait -1
	global_inv scope:SCOPE_SE
	ds_store_2addr_b64 v126, v[18:19], v[24:25] offset1:17
	ds_store_2addr_b64 v126, v[16:17], v[20:21] offset0:34 offset1:51
	ds_store_2addr_b64 v127, v[26:27], v[77:78] offset1:17
	ds_store_2addr_b64 v127, v[22:23], v[79:80] offset0:34 offset1:51
	;; [unrolled: 2-line block ×3, first 2 shown]
	global_wb scope:SCOPE_SE
	s_wait_dscnt 0x0
	s_barrier_signal -1
	s_barrier_wait -1
	global_inv scope:SCOPE_SE
	ds_load_2addr_b64 v[20:23], v103 offset0:40 offset1:210
	ds_load_2addr_b64 v[24:27], v102 offset0:80 offset1:250
	;; [unrolled: 1-line block ×4, first 2 shown]
	ds_load_2addr_b64 v[85:88], v124 offset1:170
	ds_load_2addr_b64 v[16:19], v101 offset0:84 offset1:254
	global_wb scope:SCOPE_SE
	s_wait_dscnt 0x0
	s_barrier_signal -1
	s_barrier_wait -1
	global_inv scope:SCOPE_SE
	v_mul_f32_e32 v89, v41, v21
	v_dual_mul_f32 v41, v41, v20 :: v_dual_mul_f32 v90, v43, v25
	s_delay_alu instid0(VALU_DEP_2) | instskip(SKIP_1) | instid1(VALU_DEP_3)
	v_fmac_f32_e32 v89, v40, v20
	v_mul_f32_e32 v20, v43, v24
	v_fma_f32 v21, v40, v21, -v41
	v_mul_f32_e32 v40, v37, v23
	v_fmac_f32_e32 v90, v42, v24
	v_mul_f32_e32 v24, v37, v22
	v_fma_f32 v25, v42, v25, -v20
	v_mul_f32_e32 v20, v39, v26
	v_fmac_f32_e32 v40, v36, v22
	v_dual_mul_f32 v22, v33, v77 :: v_dual_mul_f32 v37, v39, v27
	v_mul_f32_e32 v39, v33, v78
	s_delay_alu instid0(VALU_DEP_4)
	v_fma_f32 v27, v38, v27, -v20
	v_mul_f32_e32 v20, v35, v81
	v_mul_f32_e32 v42, v31, v84
	;; [unrolled: 1-line block ×3, first 2 shown]
	v_fma_f32 v35, v32, v78, -v22
	v_mul_f32_e32 v22, v29, v79
	v_fma_f32 v36, v36, v23, -v24
	v_fmac_f32_e32 v42, v30, v83
	v_fmac_f32_e32 v33, v34, v81
	v_fma_f32 v41, v34, v82, -v20
	v_fma_f32 v43, v28, v80, -v22
	v_add_f32_e32 v22, v89, v90
	v_dual_fmac_f32 v37, v38, v26 :: v_dual_add_f32 v24, v21, v25
	v_mul_f32_e32 v38, v29, v80
	v_mul_f32_e32 v20, v31, v83
	v_add_f32_e32 v29, v87, v40
	s_delay_alu instid0(VALU_DEP_4) | instskip(NEXT) | instid1(VALU_DEP_4)
	v_sub_f32_e32 v31, v40, v37
	v_fmac_f32_e32 v38, v28, v79
	v_sub_f32_e32 v28, v89, v90
	v_sub_f32_e32 v26, v21, v25
	v_add_f32_e32 v23, v85, v89
	v_fmac_f32_e32 v39, v32, v77
	v_fma_f32 v77, v30, v84, -v20
	v_fma_f32 v20, -0.5, v22, v85
	v_sub_f32_e32 v30, v36, v27
	v_dual_add_f32 v22, v23, v90 :: v_dual_add_f32 v23, v86, v21
	v_fma_f32 v21, -0.5, v24, v86
	s_delay_alu instid0(VALU_DEP_2) | instskip(NEXT) | instid1(VALU_DEP_2)
	v_dual_add_f32 v32, v16, v39 :: v_dual_add_f32 v23, v23, v25
	v_fmamk_f32 v25, v28, 0x3f5db3d7, v21
	v_fmamk_f32 v24, v26, 0xbf5db3d7, v20
	v_fmac_f32_e32 v20, 0x3f5db3d7, v26
	v_dual_add_f32 v26, v40, v37 :: v_dual_fmac_f32 v21, 0xbf5db3d7, v28
	v_add_f32_e32 v28, v36, v27
	v_add_nc_u32_e32 v40, 0x3200, v124
	s_delay_alu instid0(VALU_DEP_3) | instskip(SKIP_1) | instid1(VALU_DEP_4)
	v_fma_f32 v87, -0.5, v26, v87
	v_dual_add_f32 v26, v29, v37 :: v_dual_add_f32 v29, v88, v36
	v_fmac_f32_e32 v88, -0.5, v28
	v_add_f32_e32 v36, v18, v38
	s_delay_alu instid0(VALU_DEP_4) | instskip(SKIP_4) | instid1(VALU_DEP_4)
	v_fmamk_f32 v28, v30, 0xbf5db3d7, v87
	v_dual_fmac_f32 v87, 0x3f5db3d7, v30 :: v_dual_add_f32 v30, v39, v33
	v_add_f32_e32 v27, v29, v27
	v_fmamk_f32 v29, v31, 0x3f5db3d7, v88
	v_dual_fmac_f32 v88, 0xbf5db3d7, v31 :: v_dual_add_f32 v31, v35, v41
	v_fma_f32 v30, -0.5, v30, v16
	v_dual_sub_f32 v16, v35, v41 :: v_dual_add_f32 v35, v17, v35
	v_sub_f32_e32 v37, v43, v77
	s_delay_alu instid0(VALU_DEP_4) | instskip(NEXT) | instid1(VALU_DEP_3)
	v_fma_f32 v31, -0.5, v31, v17
	v_dual_sub_f32 v17, v39, v33 :: v_dual_fmamk_f32 v34, v16, 0xbf5db3d7, v30
	v_fmac_f32_e32 v30, 0x3f5db3d7, v16
	v_add_f32_e32 v16, v38, v42
	v_add_f32_e32 v32, v32, v33
	;; [unrolled: 1-line block ×3, first 2 shown]
	v_fmamk_f32 v35, v17, 0x3f5db3d7, v31
	v_fmac_f32_e32 v31, 0xbf5db3d7, v17
	v_add_f32_e32 v17, v43, v77
	v_fma_f32 v18, -0.5, v16, v18
	v_dual_add_f32 v39, v19, v43 :: v_dual_add_f32 v36, v36, v42
	s_delay_alu instid0(VALU_DEP_3) | instskip(NEXT) | instid1(VALU_DEP_3)
	v_dual_sub_f32 v38, v38, v42 :: v_dual_fmac_f32 v19, -0.5, v17
	v_fmamk_f32 v16, v37, 0xbf5db3d7, v18
	v_add_nc_u32_e32 v43, 0xc00, v124
	v_fmac_f32_e32 v18, 0x3f5db3d7, v37
	v_dual_add_f32 v37, v39, v77 :: v_dual_add_nc_u32 v42, 0x1800, v124
	v_add_nc_u32_e32 v41, 0x2600, v124
	v_fmamk_f32 v17, v38, 0x3f5db3d7, v19
	v_fmac_f32_e32 v19, 0xbf5db3d7, v38
	ds_store_2addr_b64 v131, v[22:23], v[24:25] offset1:68
	ds_store_b64 v131, v[20:21] offset:1088
	ds_store_2addr_b64 v130, v[26:27], v[28:29] offset1:68
	ds_store_b64 v130, v[87:88] offset:1088
	;; [unrolled: 2-line block ×4, first 2 shown]
	global_wb scope:SCOPE_SE
	s_wait_dscnt 0x0
	s_barrier_signal -1
	s_barrier_wait -1
	global_inv scope:SCOPE_SE
	ds_load_2addr_b64 v[20:23], v124 offset1:204
	ds_load_2addr_b64 v[36:39], v43 offset0:24 offset1:228
	ds_load_2addr_b64 v[32:35], v42 offset0:48 offset1:252
	;; [unrolled: 1-line block ×4, first 2 shown]
	s_and_saveexec_b32 s1, s0
	s_cbranch_execz .LBB0_19
; %bb.18:
	v_add_nc_u32_e32 v16, 0x400, v124
	v_add_nc_u32_e32 v60, 0x1200, v124
	;; [unrolled: 1-line block ×4, first 2 shown]
	ds_load_2addr_b64 v[16:19], v16 offset0:42 offset1:246
	ds_load_2addr_b64 v[72:75], v60 offset0:2 offset1:206
	;; [unrolled: 1-line block ×5, first 2 shown]
.LBB0_19:
	s_wait_alu 0xfffe
	s_or_b32 exec_lo, exec_lo, s1
	s_wait_dscnt 0x3
	v_dual_mul_f32 v76, v57, v23 :: v_dual_mul_f32 v77, v59, v37
	v_mul_f32_e32 v57, v57, v22
	s_delay_alu instid0(VALU_DEP_2) | instskip(NEXT) | instid1(VALU_DEP_3)
	v_dual_mul_f32 v59, v59, v36 :: v_dual_fmac_f32 v76, v56, v22
	v_dual_fmac_f32 v77, v58, v36 :: v_dual_mul_f32 v22, v53, v39
	s_wait_dscnt 0x2
	v_dual_mul_f32 v36, v53, v38 :: v_dual_mul_f32 v53, v55, v33
	v_mul_f32_e32 v55, v55, v32
	v_fma_f32 v37, v58, v37, -v59
	v_fmac_f32_e32 v22, v52, v38
	s_delay_alu instid0(VALU_DEP_4)
	v_dual_mul_f32 v38, v49, v35 :: v_dual_fmac_f32 v53, v54, v32
	v_fma_f32 v36, v52, v39, -v36
	v_fma_f32 v32, v54, v33, -v55
	v_mul_f32_e32 v33, v49, v34
	s_wait_dscnt 0x1
	v_dual_mul_f32 v39, v51, v29 :: v_dual_fmac_f32 v38, v48, v34
	v_mul_f32_e32 v34, v51, v28
	v_fma_f32 v23, v56, v23, -v57
	s_delay_alu instid0(VALU_DEP_3)
	v_fmac_f32_e32 v39, v50, v28
	s_wait_dscnt 0x0
	v_mul_f32_e32 v28, v47, v24
	v_fma_f32 v29, v50, v29, -v34
	v_mul_f32_e32 v49, v45, v31
	v_fma_f32 v33, v48, v35, -v33
	s_delay_alu instid0(VALU_DEP_4) | instskip(SKIP_1) | instid1(VALU_DEP_4)
	v_fma_f32 v28, v46, v25, -v28
	v_mul_f32_e32 v25, v47, v25
	v_fmac_f32_e32 v49, v44, v30
	v_mul_f32_e32 v30, v45, v30
	v_add_f32_e32 v34, v53, v39
	s_delay_alu instid0(VALU_DEP_2) | instskip(NEXT) | instid1(VALU_DEP_2)
	v_fma_f32 v30, v44, v31, -v30
	v_fma_f32 v47, -0.5, v34, v20
	v_sub_f32_e32 v34, v37, v28
	v_fmac_f32_e32 v25, v46, v24
	v_add_f32_e32 v45, v20, v77
	v_sub_f32_e32 v44, v32, v29
	s_delay_alu instid0(VALU_DEP_3) | instskip(NEXT) | instid1(VALU_DEP_3)
	v_sub_f32_e32 v46, v25, v39
	v_dual_mul_f32 v35, v118, v27 :: v_dual_add_f32 v24, v45, v53
	s_delay_alu instid0(VALU_DEP_1) | instskip(SKIP_1) | instid1(VALU_DEP_3)
	v_dual_sub_f32 v45, v77, v53 :: v_dual_add_f32 v24, v24, v39
	v_dual_fmamk_f32 v31, v34, 0xbf737871, v47 :: v_dual_add_f32 v48, v77, v25
	v_fmac_f32_e32 v35, v117, v26
	v_mul_f32_e32 v26, v118, v26
	s_delay_alu instid0(VALU_DEP_4) | instskip(NEXT) | instid1(VALU_DEP_4)
	v_add_f32_e32 v45, v45, v46
	v_fmac_f32_e32 v31, 0xbf167918, v44
	v_fma_f32 v46, -0.5, v48, v20
	v_add_f32_e32 v48, v24, v25
	v_sub_f32_e32 v24, v53, v77
	v_fma_f32 v20, v117, v27, -v26
	v_dual_fmac_f32 v47, 0x3f737871, v34 :: v_dual_sub_f32 v26, v39, v25
	v_dual_fmamk_f32 v50, v44, 0x3f737871, v46 :: v_dual_add_f32 v27, v21, v37
	v_dual_add_f32 v51, v32, v29 :: v_dual_fmac_f32 v46, 0xbf737871, v44
	s_delay_alu instid0(VALU_DEP_3) | instskip(NEXT) | instid1(VALU_DEP_4)
	v_dual_fmac_f32 v31, 0x3e9e377a, v45 :: v_dual_add_f32 v24, v24, v26
	v_fmac_f32_e32 v47, 0x3f167918, v44
	s_delay_alu instid0(VALU_DEP_4) | instskip(NEXT) | instid1(VALU_DEP_4)
	v_fmac_f32_e32 v50, 0xbf167918, v34
	v_fmac_f32_e32 v46, 0x3f167918, v34
	v_dual_add_f32 v26, v27, v32 :: v_dual_sub_f32 v25, v77, v25
	v_fma_f32 v44, -0.5, v51, v21
	s_delay_alu instid0(VALU_DEP_4) | instskip(NEXT) | instid1(VALU_DEP_3)
	v_dual_fmac_f32 v47, 0x3e9e377a, v45 :: v_dual_fmac_f32 v50, 0x3e9e377a, v24
	v_dual_add_f32 v26, v26, v29 :: v_dual_add_f32 v27, v37, v28
	s_delay_alu instid0(VALU_DEP_3)
	v_fmamk_f32 v45, v25, 0x3f737871, v44
	v_fmac_f32_e32 v44, 0xbf737871, v25
	v_dual_sub_f32 v34, v53, v39 :: v_dual_sub_f32 v51, v28, v29
	v_sub_f32_e32 v39, v37, v32
	v_fmac_f32_e32 v46, 0x3e9e377a, v24
	v_fma_f32 v52, -0.5, v27, v21
	s_delay_alu instid0(VALU_DEP_4)
	v_dual_add_f32 v53, v26, v28 :: v_dual_fmac_f32 v44, 0xbf167918, v34
	v_dual_fmac_f32 v45, 0x3f167918, v34 :: v_dual_sub_f32 v26, v29, v28
	v_dual_sub_f32 v24, v32, v37 :: v_dual_add_f32 v21, v39, v51
	v_add_f32_e32 v27, v76, v22
	v_fmamk_f32 v39, v34, 0xbf737871, v52
	v_fmac_f32_e32 v52, 0x3f737871, v34
	s_delay_alu instid0(VALU_DEP_4)
	v_add_f32_e32 v24, v24, v26
	v_fmac_f32_e32 v44, 0x3e9e377a, v21
	v_dual_fmac_f32 v45, 0x3e9e377a, v21 :: v_dual_add_f32 v26, v27, v38
	v_add_f32_e32 v27, v38, v49
	v_fmac_f32_e32 v39, 0x3f167918, v25
	v_fmac_f32_e32 v52, 0xbf167918, v25
	v_dual_sub_f32 v28, v38, v22 :: v_dual_sub_f32 v37, v49, v35
	s_delay_alu instid0(VALU_DEP_4) | instskip(SKIP_1) | instid1(VALU_DEP_4)
	v_fma_f32 v25, -0.5, v27, v76
	v_sub_f32_e32 v27, v36, v20
	v_dual_add_f32 v21, v26, v49 :: v_dual_fmac_f32 v52, 0x3e9e377a, v24
	v_dual_add_f32 v26, v22, v35 :: v_dual_fmac_f32 v39, 0x3e9e377a, v24
	s_delay_alu instid0(VALU_DEP_2) | instskip(SKIP_1) | instid1(VALU_DEP_3)
	v_dual_fmamk_f32 v29, v27, 0xbf737871, v25 :: v_dual_add_f32 v32, v21, v35
	v_sub_f32_e32 v21, v33, v30
	v_fmac_f32_e32 v76, -0.5, v26
	v_dual_sub_f32 v24, v22, v38 :: v_dual_fmac_f32 v25, 0x3f737871, v27
	v_sub_f32_e32 v26, v35, v49
	s_delay_alu instid0(VALU_DEP_4) | instskip(NEXT) | instid1(VALU_DEP_4)
	v_fmac_f32_e32 v29, 0xbf167918, v21
	v_fmamk_f32 v34, v21, 0x3f737871, v76
	v_fmac_f32_e32 v76, 0xbf737871, v21
	s_delay_alu instid0(VALU_DEP_4) | instskip(NEXT) | instid1(VALU_DEP_3)
	v_dual_fmac_f32 v25, 0x3f167918, v21 :: v_dual_add_f32 v24, v24, v26
	v_dual_add_f32 v21, v33, v30 :: v_dual_fmac_f32 v34, 0xbf167918, v27
	v_add_f32_e32 v26, v28, v37
	s_delay_alu instid0(VALU_DEP_4) | instskip(NEXT) | instid1(VALU_DEP_4)
	v_fmac_f32_e32 v76, 0x3f167918, v27
	v_fmac_f32_e32 v29, 0x3e9e377a, v24
	;; [unrolled: 1-line block ×3, first 2 shown]
	v_fma_f32 v21, -0.5, v21, v23
	v_fmac_f32_e32 v34, 0x3e9e377a, v26
	v_sub_f32_e32 v28, v38, v49
	v_sub_f32_e32 v22, v22, v35
	v_add_f32_e32 v24, v36, v20
	v_add_f32_e32 v27, v23, v36
	s_delay_alu instid0(VALU_DEP_3) | instskip(NEXT) | instid1(VALU_DEP_3)
	v_fmamk_f32 v35, v22, 0x3f737871, v21
	v_fmac_f32_e32 v23, -0.5, v24
	s_delay_alu instid0(VALU_DEP_1) | instskip(SKIP_1) | instid1(VALU_DEP_2)
	v_dual_fmamk_f32 v37, v28, 0xbf737871, v23 :: v_dual_sub_f32 v38, v30, v20
	v_fmac_f32_e32 v21, 0xbf737871, v22
	v_dual_fmac_f32 v37, 0x3f167918, v22 :: v_dual_sub_f32 v24, v36, v33
	v_fmac_f32_e32 v23, 0x3f737871, v28
	v_fmac_f32_e32 v35, 0x3f167918, v28
	;; [unrolled: 1-line block ×3, first 2 shown]
	v_dual_sub_f32 v26, v20, v30 :: v_dual_fmac_f32 v21, 0xbf167918, v28
	s_delay_alu instid0(VALU_DEP_4) | instskip(NEXT) | instid1(VALU_DEP_2)
	v_dual_sub_f32 v36, v33, v36 :: v_dual_fmac_f32 v23, 0xbf167918, v22
	v_add_f32_e32 v24, v24, v26
	s_delay_alu instid0(VALU_DEP_1) | instskip(NEXT) | instid1(VALU_DEP_4)
	v_dual_fmac_f32 v35, 0x3e9e377a, v24 :: v_dual_add_f32 v26, v36, v38
	v_dual_add_f32 v22, v27, v33 :: v_dual_fmac_f32 v21, 0x3e9e377a, v24
	s_delay_alu instid0(VALU_DEP_2) | instskip(NEXT) | instid1(VALU_DEP_3)
	v_mul_f32_e32 v33, 0xbf167918, v35
	v_fmac_f32_e32 v37, 0x3e9e377a, v26
	s_delay_alu instid0(VALU_DEP_3) | instskip(SKIP_3) | instid1(VALU_DEP_4)
	v_add_f32_e32 v22, v22, v30
	v_fmac_f32_e32 v23, 0x3e9e377a, v26
	v_mul_f32_e32 v35, 0x3f4f1bbd, v35
	v_mul_f32_e32 v51, 0xbf167918, v21
	v_dual_mul_f32 v36, 0xbf737871, v37 :: v_dual_add_f32 v49, v22, v20
	v_dual_mul_f32 v37, 0x3e9e377a, v37 :: v_dual_add_f32 v20, v48, v32
	v_mul_f32_e32 v38, 0xbf737871, v23
	s_delay_alu instid0(VALU_DEP_3) | instskip(SKIP_3) | instid1(VALU_DEP_4)
	v_fmac_f32_e32 v36, 0x3e9e377a, v34
	v_fmac_f32_e32 v33, 0x3f4f1bbd, v29
	v_mul_f32_e32 v55, 0xbf4f1bbd, v21
	v_fmac_f32_e32 v35, 0x3f167918, v29
	v_dual_fmac_f32 v37, 0x3f737871, v34 :: v_dual_add_f32 v24, v50, v36
	s_delay_alu instid0(VALU_DEP_4)
	v_add_f32_e32 v22, v31, v33
	v_dual_add_f32 v21, v53, v49 :: v_dual_sub_f32 v34, v50, v36
	v_fmac_f32_e32 v38, 0xbe9e377a, v76
	v_mul_f32_e32 v54, 0xbe9e377a, v23
	v_dual_add_f32 v23, v45, v35 :: v_dual_sub_f32 v30, v48, v32
	v_sub_f32_e32 v32, v31, v33
	s_delay_alu instid0(VALU_DEP_4) | instskip(SKIP_2) | instid1(VALU_DEP_3)
	v_dual_add_f32 v26, v46, v38 :: v_dual_fmac_f32 v51, 0xbf4f1bbd, v25
	v_dual_sub_f32 v36, v46, v38 :: v_dual_sub_f32 v31, v53, v49
	v_sub_f32_e32 v33, v45, v35
	v_dual_add_f32 v28, v47, v51 :: v_dual_fmac_f32 v55, 0x3f167918, v25
	v_dual_add_f32 v25, v39, v37 :: v_dual_fmac_f32 v54, 0x3f737871, v76
	v_sub_f32_e32 v38, v47, v51
	v_sub_f32_e32 v35, v39, v37
	s_delay_alu instid0(VALU_DEP_4)
	v_add_f32_e32 v29, v44, v55
	v_sub_f32_e32 v39, v44, v55
	v_add_f32_e32 v27, v52, v54
	v_sub_f32_e32 v37, v52, v54
	ds_store_2addr_b64 v124, v[20:21], v[22:23] offset1:204
	ds_store_2addr_b64 v43, v[24:25], v[26:27] offset0:24 offset1:228
	ds_store_2addr_b64 v42, v[28:29], v[30:31] offset0:48 offset1:252
	ds_store_2addr_b64 v41, v[32:33], v[34:35] offset0:8 offset1:212
	ds_store_2addr_b64 v40, v[36:37], v[38:39] offset0:32 offset1:236
	s_and_saveexec_b32 s1, s0
	s_cbranch_execz .LBB0_21
; %bb.20:
	v_mul_f32_e32 v23, v11, v60
	v_mul_f32_e32 v11, v11, v61
	;; [unrolled: 1-line block ×3, first 2 shown]
	v_dual_mul_f32 v21, v15, v64 :: v_dual_mul_f32 v28, v13, v71
	s_delay_alu instid0(VALU_DEP_3) | instskip(NEXT) | instid1(VALU_DEP_3)
	v_dual_mul_f32 v26, v3, v69 :: v_dual_fmac_f32 v11, v10, v60
	v_fmac_f32_e32 v24, v6, v72
	v_mul_f32_e32 v20, v3, v68
	s_delay_alu instid0(VALU_DEP_4) | instskip(SKIP_1) | instid1(VALU_DEP_4)
	v_fma_f32 v21, v14, v65, -v21
	v_dual_fmac_f32 v28, v12, v70 :: v_dual_mul_f32 v15, v15, v65
	v_sub_f32_e32 v3, v24, v11
	s_delay_alu instid0(VALU_DEP_4) | instskip(SKIP_1) | instid1(VALU_DEP_4)
	v_fma_f32 v20, v2, v69, -v20
	v_dual_mul_f32 v22, v7, v72 :: v_dual_mul_f32 v27, v1, v75
	v_fmac_f32_e32 v15, v14, v64
	s_delay_alu instid0(VALU_DEP_3) | instskip(NEXT) | instid1(VALU_DEP_3)
	v_dual_fmac_f32 v26, v2, v68 :: v_dual_add_f32 v7, v20, v21
	v_fma_f32 v22, v6, v73, -v22
	s_delay_alu instid0(VALU_DEP_4) | instskip(SKIP_1) | instid1(VALU_DEP_4)
	v_dual_fmac_f32 v27, v0, v74 :: v_dual_mul_f32 v2, v110, v63
	v_fma_f32 v23, v10, v61, -v23
	v_fma_f32 v25, -0.5, v7, v17
	s_delay_alu instid0(VALU_DEP_4) | instskip(NEXT) | instid1(VALU_DEP_3)
	v_dual_sub_f32 v6, v22, v20 :: v_dual_mul_f32 v7, v13, v70
	v_dual_mul_f32 v13, v5, v19 :: v_dual_sub_f32 v10, v23, v21
	v_mul_f32_e32 v14, v9, v67
	v_mul_f32_e32 v9, v9, v66
	s_delay_alu instid0(VALU_DEP_4)
	v_fma_f32 v7, v12, v71, -v7
	v_dual_mul_f32 v5, v5, v18 :: v_dual_sub_f32 v36, v26, v15
	v_fmac_f32_e32 v13, v4, v18
	v_fmac_f32_e32 v14, v8, v66
	v_fma_f32 v8, v8, v67, -v9
	v_mul_f32_e32 v9, v110, v62
	v_fmac_f32_e32 v2, v109, v62
	v_fma_f32 v4, v4, v19, -v5
	s_delay_alu instid0(VALU_DEP_4) | instskip(NEXT) | instid1(VALU_DEP_4)
	v_dual_add_f32 v6, v6, v10 :: v_dual_add_f32 v5, v7, v8
	v_fma_f32 v9, v109, v63, -v9
	v_sub_f32_e32 v35, v7, v8
	v_mul_f32_e32 v1, v1, v74
	v_sub_f32_e32 v38, v20, v22
	v_fma_f32 v18, -0.5, v5, v4
	v_dual_sub_f32 v5, v27, v2 :: v_dual_sub_f32 v30, v9, v8
	s_delay_alu instid0(VALU_DEP_4) | instskip(SKIP_1) | instid1(VALU_DEP_3)
	v_fma_f32 v0, v0, v75, -v1
	v_dual_sub_f32 v1, v27, v28 :: v_dual_add_f32 v12, v28, v14
	v_fmamk_f32 v31, v5, 0xbf737871, v18
	v_sub_f32_e32 v33, v2, v14
	s_delay_alu instid0(VALU_DEP_4) | instskip(SKIP_4) | instid1(VALU_DEP_4)
	v_sub_f32_e32 v19, v0, v9
	v_sub_f32_e32 v32, v28, v14
	v_fma_f32 v12, -0.5, v12, v13
	v_fmac_f32_e32 v18, 0x3f737871, v5
	v_dual_add_f32 v33, v1, v33 :: v_dual_sub_f32 v42, v28, v27
	v_fmac_f32_e32 v31, 0xbf167918, v32
	s_delay_alu instid0(VALU_DEP_4) | instskip(SKIP_3) | instid1(VALU_DEP_4)
	v_fmamk_f32 v34, v19, 0x3f737871, v12
	v_dual_add_f32 v40, v27, v2 :: v_dual_add_f32 v37, v22, v23
	v_sub_f32_e32 v44, v7, v0
	v_fmac_f32_e32 v12, 0xbf737871, v19
	v_fmac_f32_e32 v34, 0x3f167918, v35
	v_sub_f32_e32 v29, v0, v7
	v_fma_f32 v37, -0.5, v37, v17
	v_sub_f32_e32 v43, v14, v2
	v_fma_f32 v40, -0.5, v40, v13
	s_delay_alu instid0(VALU_DEP_4) | instskip(SKIP_3) | instid1(VALU_DEP_4)
	v_dual_fmac_f32 v34, 0x3e9e377a, v33 :: v_dual_add_f32 v29, v29, v30
	v_fmamk_f32 v30, v3, 0xbf737871, v25
	v_fmamk_f32 v48, v36, 0x3f737871, v37
	v_dual_add_f32 v39, v0, v9 :: v_dual_add_f32 v42, v42, v43
	v_fmac_f32_e32 v31, 0x3e9e377a, v29
	s_delay_alu instid0(VALU_DEP_4) | instskip(NEXT) | instid1(VALU_DEP_4)
	v_dual_fmac_f32 v30, 0xbf167918, v36 :: v_dual_sub_f32 v45, v8, v9
	v_fmac_f32_e32 v48, 0xbf167918, v3
	s_delay_alu instid0(VALU_DEP_4) | instskip(NEXT) | instid1(VALU_DEP_4)
	v_fma_f32 v39, -0.5, v39, v4
	v_mul_f32_e32 v10, 0xbf4f1bbd, v31
	s_delay_alu instid0(VALU_DEP_4) | instskip(SKIP_1) | instid1(VALU_DEP_4)
	v_dual_fmac_f32 v30, 0x3e9e377a, v6 :: v_dual_sub_f32 v41, v21, v23
	v_add_f32_e32 v43, v44, v45
	v_fmamk_f32 v46, v32, 0x3f737871, v39
	s_delay_alu instid0(VALU_DEP_4) | instskip(NEXT) | instid1(VALU_DEP_4)
	v_fmac_f32_e32 v10, 0x3f167918, v34
	v_dual_fmamk_f32 v47, v35, 0xbf737871, v40 :: v_dual_add_f32 v38, v38, v41
	v_fmac_f32_e32 v39, 0xbf737871, v32
	s_delay_alu instid0(VALU_DEP_3) | instskip(SKIP_2) | instid1(VALU_DEP_4)
	v_dual_fmac_f32 v40, 0x3f737871, v35 :: v_dual_sub_f32 v1, v30, v10
	v_fmac_f32_e32 v25, 0x3f737871, v3
	v_fmac_f32_e32 v46, 0xbf167918, v5
	v_dual_fmac_f32 v39, 0x3f167918, v5 :: v_dual_add_f32 v0, v4, v0
	v_fmac_f32_e32 v37, 0xbf737871, v36
	v_dual_fmac_f32 v40, 0xbf167918, v19 :: v_dual_add_f32 v5, v22, v17
	v_dual_fmac_f32 v47, 0x3f167918, v19 :: v_dual_fmac_f32 v18, 0x3f167918, v32
	s_delay_alu instid0(VALU_DEP_4) | instskip(NEXT) | instid1(VALU_DEP_3)
	v_dual_fmac_f32 v48, 0x3e9e377a, v38 :: v_dual_fmac_f32 v39, 0x3e9e377a, v43
	v_fmac_f32_e32 v40, 0x3e9e377a, v42
	v_add_f32_e32 v0, v0, v7
	v_fmac_f32_e32 v37, 0x3f167918, v3
	v_add_f32_e32 v3, v20, v5
	v_fmac_f32_e32 v25, 0x3f167918, v36
	v_dual_fmac_f32 v18, 0x3e9e377a, v29 :: v_dual_fmac_f32 v47, 0x3e9e377a, v42
	s_delay_alu instid0(VALU_DEP_3) | instskip(SKIP_3) | instid1(VALU_DEP_4)
	v_dual_add_f32 v0, v0, v8 :: v_dual_add_f32 v3, v21, v3
	v_fmac_f32_e32 v46, 0x3e9e377a, v43
	v_fmac_f32_e32 v12, 0xbf167918, v35
	v_add_f32_e32 v4, v24, v11
	v_dual_add_f32 v29, v0, v9 :: v_dual_add_f32 v0, v26, v15
	s_delay_alu instid0(VALU_DEP_4) | instskip(SKIP_3) | instid1(VALU_DEP_4)
	v_mul_f32_e32 v41, 0xbe9e377a, v46
	v_fmac_f32_e32 v25, 0x3e9e377a, v6
	v_sub_f32_e32 v6, v24, v26
	v_dual_fmac_f32 v37, 0x3e9e377a, v38 :: v_dual_mul_f32 v38, 0x3e9e377a, v39
	v_fmac_f32_e32 v41, 0x3f737871, v47
	v_dual_fmac_f32 v12, 0x3e9e377a, v33 :: v_dual_add_f32 v19, v23, v3
	v_mul_f32_e32 v17, 0x3f4f1bbd, v18
	v_mul_f32_e32 v18, 0xbf167918, v18
	s_delay_alu instid0(VALU_DEP_4) | instskip(SKIP_1) | instid1(VALU_DEP_4)
	v_dual_fmac_f32 v38, 0x3f737871, v40 :: v_dual_sub_f32 v3, v48, v41
	v_fma_f32 v32, -0.5, v0, v16
	v_dual_fmac_f32 v17, 0x3f167918, v12 :: v_dual_sub_f32 v0, v22, v23
	v_add_f32_e32 v13, v13, v27
	s_delay_alu instid0(VALU_DEP_4) | instskip(SKIP_1) | instid1(VALU_DEP_4)
	v_dual_sub_f32 v5, v37, v38 :: v_dual_sub_f32 v8, v20, v21
	v_fma_f32 v20, -0.5, v4, v16
	v_dual_sub_f32 v7, v25, v17 :: v_dual_sub_f32 v22, v26, v24
	v_sub_f32_e32 v4, v11, v15
	v_sub_f32_e32 v23, v15, v11
	s_delay_alu instid0(VALU_DEP_4)
	v_fmamk_f32 v33, v8, 0xbf737871, v20
	v_fmac_f32_e32 v20, 0x3f737871, v8
	v_mul_f32_e32 v31, 0xbf167918, v31
	v_dual_sub_f32 v9, v19, v29 :: v_dual_add_f32 v4, v6, v4
	v_dual_fmamk_f32 v21, v0, 0x3f737871, v32 :: v_dual_add_f32 v6, v22, v23
	v_mul_f32_e32 v22, 0xbf737871, v46
	v_fmac_f32_e32 v33, 0x3f167918, v0
	v_fmac_f32_e32 v20, 0xbf167918, v0
	v_dual_fmac_f32 v31, 0xbf4f1bbd, v34 :: v_dual_add_f32 v16, v24, v16
	v_fmac_f32_e32 v32, 0xbf737871, v0
	s_delay_alu instid0(VALU_DEP_4) | instskip(NEXT) | instid1(VALU_DEP_4)
	v_fmac_f32_e32 v33, 0x3e9e377a, v6
	v_fmac_f32_e32 v20, 0x3e9e377a, v6
	v_add_f32_e32 v6, v13, v28
	v_add_f32_e32 v0, v26, v16
	v_mul_f32_e32 v16, 0xbf737871, v39
	v_dual_fmac_f32 v32, 0xbf167918, v8 :: v_dual_add_f32 v17, v25, v17
	s_delay_alu instid0(VALU_DEP_3) | instskip(SKIP_1) | instid1(VALU_DEP_3)
	v_dual_add_f32 v19, v29, v19 :: v_dual_add_f32 v0, v15, v0
	v_fmac_f32_e32 v22, 0xbe9e377a, v47
	v_fmac_f32_e32 v32, 0x3e9e377a, v4
	v_dual_fmac_f32 v18, 0x3f4f1bbd, v12 :: v_dual_add_f32 v15, v37, v38
	s_delay_alu instid0(VALU_DEP_4) | instskip(SKIP_3) | instid1(VALU_DEP_2)
	v_add_f32_e32 v23, v11, v0
	v_add_f32_e32 v11, v30, v10
	v_dual_fmac_f32 v21, 0x3f167918, v8 :: v_dual_add_f32 v6, v6, v14
	v_dual_fmac_f32 v16, 0x3e9e377a, v40 :: v_dual_add_f32 v13, v48, v41
	v_dual_add_f32 v12, v33, v22 :: v_dual_fmac_f32 v21, 0x3e9e377a, v4
	s_delay_alu instid0(VALU_DEP_3) | instskip(SKIP_1) | instid1(VALU_DEP_4)
	v_add_f32_e32 v24, v6, v2
	v_sub_f32_e32 v2, v33, v22
	v_sub_f32_e32 v4, v20, v16
	;; [unrolled: 1-line block ×3, first 2 shown]
	v_add_f32_e32 v14, v20, v16
	v_add_f32_e32 v16, v32, v18
	;; [unrolled: 1-line block ×3, first 2 shown]
	v_add_nc_u32_e32 v20, 0x400, v124
	v_sub_f32_e32 v0, v21, v31
	v_dual_add_f32 v10, v21, v31 :: v_dual_add_nc_u32 v21, 0x1200, v124
	v_sub_f32_e32 v8, v23, v24
	v_add_nc_u32_e32 v22, 0x1e00, v124
	v_add_nc_u32_e32 v23, 0x2a00, v124
	;; [unrolled: 1-line block ×3, first 2 shown]
	ds_store_2addr_b64 v20, v[18:19], v[16:17] offset0:42 offset1:246
	ds_store_2addr_b64 v21, v[14:15], v[12:13] offset0:2 offset1:206
	;; [unrolled: 1-line block ×5, first 2 shown]
.LBB0_21:
	s_wait_alu 0xfffe
	s_or_b32 exec_lo, exec_lo, s1
	global_wb scope:SCOPE_SE
	s_wait_dscnt 0x0
	s_barrier_signal -1
	s_barrier_wait -1
	global_inv scope:SCOPE_SE
	s_and_b32 exec_lo, exec_lo, vcc_lo
	s_cbranch_execz .LBB0_23
; %bb.22:
	global_load_b64 v[0:1], v122, s[12:13]
	ds_load_b64 v[2:3], v124
	v_mad_co_u64_u32 v[6:7], null, s4, v123, 0
	s_mov_b32 s0, 0x10101010
	s_mov_b32 s1, 0x3f401010
	s_mul_u64 s[2:3], s[4:5], 0x3c0
	s_wait_loadcnt_dscnt 0x0
	v_mul_f32_e32 v4, v3, v1
	v_mul_f32_e32 v1, v2, v1
	s_delay_alu instid0(VALU_DEP_2) | instskip(NEXT) | instid1(VALU_DEP_2)
	v_fmac_f32_e32 v4, v2, v0
	v_fma_f32 v2, v0, v3, -v1
	s_delay_alu instid0(VALU_DEP_2) | instskip(NEXT) | instid1(VALU_DEP_2)
	v_cvt_f64_f32_e32 v[0:1], v4
	v_cvt_f64_f32_e32 v[2:3], v2
	v_mad_co_u64_u32 v[4:5], null, s6, v108, 0
	s_wait_alu 0xfffe
	s_delay_alu instid0(VALU_DEP_3) | instskip(NEXT) | instid1(VALU_DEP_3)
	v_mul_f64_e32 v[0:1], s[0:1], v[0:1]
	v_mul_f64_e32 v[2:3], s[0:1], v[2:3]
	s_delay_alu instid0(VALU_DEP_2) | instskip(NEXT) | instid1(VALU_DEP_2)
	v_cvt_f32_f64_e32 v0, v[0:1]
	v_cvt_f32_f64_e32 v1, v[2:3]
	v_dual_mov_b32 v3, v7 :: v_dual_mov_b32 v2, v5
	s_delay_alu instid0(VALU_DEP_1) | instskip(SKIP_1) | instid1(VALU_DEP_2)
	v_mad_co_u64_u32 v[7:8], null, s7, v108, v[2:3]
	v_mad_co_u64_u32 v[2:3], null, s5, v123, v[3:4]
	v_mov_b32_e32 v5, v7
	s_delay_alu instid0(VALU_DEP_2) | instskip(NEXT) | instid1(VALU_DEP_2)
	v_mov_b32_e32 v7, v2
	v_lshlrev_b64_e32 v[2:3], 3, v[4:5]
	s_delay_alu instid0(VALU_DEP_2) | instskip(NEXT) | instid1(VALU_DEP_2)
	v_lshlrev_b64_e32 v[4:5], 3, v[6:7]
	v_add_co_u32 v8, vcc_lo, s14, v2
	s_delay_alu instid0(VALU_DEP_3) | instskip(NEXT) | instid1(VALU_DEP_2)
	v_add_co_ci_u32_e32 v9, vcc_lo, s15, v3, vcc_lo
	v_add_co_u32 v4, vcc_lo, v8, v4
	s_wait_alu 0xfffd
	s_delay_alu instid0(VALU_DEP_2)
	v_add_co_ci_u32_e32 v5, vcc_lo, v9, v5, vcc_lo
	global_store_b64 v[4:5], v[0:1], off
	global_load_b64 v[6:7], v122, s[12:13] offset:960
	ds_load_2addr_b64 v[0:3], v122 offset0:120 offset1:240
	v_add_co_u32 v4, vcc_lo, v4, s2
	s_wait_alu 0xfffd
	v_add_co_ci_u32_e32 v5, vcc_lo, s3, v5, vcc_lo
	s_wait_loadcnt_dscnt 0x0
	v_mul_f32_e32 v10, v1, v7
	v_mul_f32_e32 v7, v0, v7
	s_delay_alu instid0(VALU_DEP_2) | instskip(NEXT) | instid1(VALU_DEP_2)
	v_fmac_f32_e32 v10, v0, v6
	v_fma_f32 v6, v6, v1, -v7
	s_delay_alu instid0(VALU_DEP_2) | instskip(NEXT) | instid1(VALU_DEP_2)
	v_cvt_f64_f32_e32 v[0:1], v10
	v_cvt_f64_f32_e32 v[6:7], v6
	s_delay_alu instid0(VALU_DEP_2) | instskip(NEXT) | instid1(VALU_DEP_2)
	v_mul_f64_e32 v[0:1], s[0:1], v[0:1]
	v_mul_f64_e32 v[6:7], s[0:1], v[6:7]
	s_delay_alu instid0(VALU_DEP_2) | instskip(NEXT) | instid1(VALU_DEP_2)
	v_cvt_f32_f64_e32 v0, v[0:1]
	v_cvt_f32_f64_e32 v1, v[6:7]
	global_store_b64 v[4:5], v[0:1], off
	global_load_b64 v[0:1], v122, s[12:13] offset:1920
	v_add_co_u32 v4, vcc_lo, v4, s2
	s_wait_alu 0xfffd
	v_add_co_ci_u32_e32 v5, vcc_lo, s3, v5, vcc_lo
	s_wait_loadcnt 0x0
	v_mul_f32_e32 v6, v3, v1
	v_mul_f32_e32 v1, v2, v1
	s_delay_alu instid0(VALU_DEP_2) | instskip(NEXT) | instid1(VALU_DEP_2)
	v_fmac_f32_e32 v6, v2, v0
	v_fma_f32 v2, v0, v3, -v1
	s_delay_alu instid0(VALU_DEP_2) | instskip(NEXT) | instid1(VALU_DEP_2)
	v_cvt_f64_f32_e32 v[0:1], v6
	v_cvt_f64_f32_e32 v[2:3], v2
	s_delay_alu instid0(VALU_DEP_2) | instskip(NEXT) | instid1(VALU_DEP_2)
	v_mul_f64_e32 v[0:1], s[0:1], v[0:1]
	v_mul_f64_e32 v[2:3], s[0:1], v[2:3]
	s_delay_alu instid0(VALU_DEP_2) | instskip(NEXT) | instid1(VALU_DEP_2)
	v_cvt_f32_f64_e32 v0, v[0:1]
	v_cvt_f32_f64_e32 v1, v[2:3]
	global_store_b64 v[4:5], v[0:1], off
	global_load_b64 v[6:7], v122, s[12:13] offset:2880
	v_add_nc_u32_e32 v0, 0x800, v122
	v_add_co_u32 v4, vcc_lo, v4, s2
	s_wait_alu 0xfffd
	v_add_co_ci_u32_e32 v5, vcc_lo, s3, v5, vcc_lo
	ds_load_2addr_b64 v[0:3], v0 offset0:104 offset1:224
	s_wait_loadcnt_dscnt 0x0
	v_mul_f32_e32 v10, v1, v7
	v_mul_f32_e32 v7, v0, v7
	s_delay_alu instid0(VALU_DEP_2) | instskip(NEXT) | instid1(VALU_DEP_2)
	v_fmac_f32_e32 v10, v0, v6
	v_fma_f32 v6, v6, v1, -v7
	s_delay_alu instid0(VALU_DEP_2) | instskip(NEXT) | instid1(VALU_DEP_2)
	v_cvt_f64_f32_e32 v[0:1], v10
	v_cvt_f64_f32_e32 v[6:7], v6
	s_delay_alu instid0(VALU_DEP_2) | instskip(NEXT) | instid1(VALU_DEP_2)
	v_mul_f64_e32 v[0:1], s[0:1], v[0:1]
	v_mul_f64_e32 v[6:7], s[0:1], v[6:7]
	s_delay_alu instid0(VALU_DEP_2) | instskip(NEXT) | instid1(VALU_DEP_2)
	v_cvt_f32_f64_e32 v0, v[0:1]
	v_cvt_f32_f64_e32 v1, v[6:7]
	global_store_b64 v[4:5], v[0:1], off
	global_load_b64 v[0:1], v122, s[12:13] offset:3840
	v_add_co_u32 v4, vcc_lo, v4, s2
	s_wait_alu 0xfffd
	v_add_co_ci_u32_e32 v5, vcc_lo, s3, v5, vcc_lo
	s_wait_loadcnt 0x0
	v_mul_f32_e32 v6, v3, v1
	v_mul_f32_e32 v1, v2, v1
	s_delay_alu instid0(VALU_DEP_2) | instskip(NEXT) | instid1(VALU_DEP_2)
	v_fmac_f32_e32 v6, v2, v0
	v_fma_f32 v2, v0, v3, -v1
	s_delay_alu instid0(VALU_DEP_2) | instskip(NEXT) | instid1(VALU_DEP_2)
	v_cvt_f64_f32_e32 v[0:1], v6
	v_cvt_f64_f32_e32 v[2:3], v2
	s_delay_alu instid0(VALU_DEP_2) | instskip(NEXT) | instid1(VALU_DEP_2)
	v_mul_f64_e32 v[0:1], s[0:1], v[0:1]
	v_mul_f64_e32 v[2:3], s[0:1], v[2:3]
	s_delay_alu instid0(VALU_DEP_2) | instskip(NEXT) | instid1(VALU_DEP_2)
	v_cvt_f32_f64_e32 v0, v[0:1]
	v_cvt_f32_f64_e32 v1, v[2:3]
	global_store_b64 v[4:5], v[0:1], off
	global_load_b64 v[6:7], v122, s[12:13] offset:4800
	v_add_nc_u32_e32 v0, 0x1000, v122
	v_add_co_u32 v4, vcc_lo, v4, s2
	s_wait_alu 0xfffd
	v_add_co_ci_u32_e32 v5, vcc_lo, s3, v5, vcc_lo
	ds_load_2addr_b64 v[0:3], v0 offset0:88 offset1:208
	s_wait_loadcnt_dscnt 0x0
	v_mul_f32_e32 v10, v1, v7
	v_mul_f32_e32 v7, v0, v7
	s_delay_alu instid0(VALU_DEP_2) | instskip(NEXT) | instid1(VALU_DEP_2)
	v_fmac_f32_e32 v10, v0, v6
	v_fma_f32 v6, v6, v1, -v7
	s_delay_alu instid0(VALU_DEP_2) | instskip(NEXT) | instid1(VALU_DEP_2)
	v_cvt_f64_f32_e32 v[0:1], v10
	v_cvt_f64_f32_e32 v[6:7], v6
	s_delay_alu instid0(VALU_DEP_2) | instskip(NEXT) | instid1(VALU_DEP_2)
	v_mul_f64_e32 v[0:1], s[0:1], v[0:1]
	v_mul_f64_e32 v[6:7], s[0:1], v[6:7]
	s_delay_alu instid0(VALU_DEP_2) | instskip(NEXT) | instid1(VALU_DEP_2)
	v_cvt_f32_f64_e32 v0, v[0:1]
	v_cvt_f32_f64_e32 v1, v[6:7]
	global_store_b64 v[4:5], v[0:1], off
	global_load_b64 v[0:1], v122, s[12:13] offset:5760
	v_add_co_u32 v4, vcc_lo, v4, s2
	s_wait_alu 0xfffd
	v_add_co_ci_u32_e32 v5, vcc_lo, s3, v5, vcc_lo
	s_wait_loadcnt 0x0
	v_mul_f32_e32 v6, v3, v1
	v_mul_f32_e32 v1, v2, v1
	s_delay_alu instid0(VALU_DEP_2) | instskip(NEXT) | instid1(VALU_DEP_2)
	v_fmac_f32_e32 v6, v2, v0
	v_fma_f32 v2, v0, v3, -v1
	s_delay_alu instid0(VALU_DEP_2) | instskip(NEXT) | instid1(VALU_DEP_2)
	v_cvt_f64_f32_e32 v[0:1], v6
	v_cvt_f64_f32_e32 v[2:3], v2
	s_delay_alu instid0(VALU_DEP_2) | instskip(NEXT) | instid1(VALU_DEP_2)
	v_mul_f64_e32 v[0:1], s[0:1], v[0:1]
	v_mul_f64_e32 v[2:3], s[0:1], v[2:3]
	s_delay_alu instid0(VALU_DEP_2) | instskip(NEXT) | instid1(VALU_DEP_2)
	v_cvt_f32_f64_e32 v0, v[0:1]
	v_cvt_f32_f64_e32 v1, v[2:3]
	global_store_b64 v[4:5], v[0:1], off
	global_load_b64 v[6:7], v122, s[12:13] offset:6720
	v_add_nc_u32_e32 v0, 0x1800, v122
	v_add_co_u32 v4, vcc_lo, v4, s2
	s_wait_alu 0xfffd
	v_add_co_ci_u32_e32 v5, vcc_lo, s3, v5, vcc_lo
	ds_load_2addr_b64 v[0:3], v0 offset0:72 offset1:192
	s_wait_loadcnt_dscnt 0x0
	v_mul_f32_e32 v10, v1, v7
	v_mul_f32_e32 v7, v0, v7
	s_delay_alu instid0(VALU_DEP_2) | instskip(NEXT) | instid1(VALU_DEP_2)
	v_fmac_f32_e32 v10, v0, v6
	v_fma_f32 v6, v6, v1, -v7
	s_delay_alu instid0(VALU_DEP_2) | instskip(NEXT) | instid1(VALU_DEP_2)
	v_cvt_f64_f32_e32 v[0:1], v10
	v_cvt_f64_f32_e32 v[6:7], v6
	s_delay_alu instid0(VALU_DEP_2) | instskip(NEXT) | instid1(VALU_DEP_2)
	v_mul_f64_e32 v[0:1], s[0:1], v[0:1]
	v_mul_f64_e32 v[6:7], s[0:1], v[6:7]
	s_delay_alu instid0(VALU_DEP_2) | instskip(NEXT) | instid1(VALU_DEP_2)
	v_cvt_f32_f64_e32 v0, v[0:1]
	v_cvt_f32_f64_e32 v1, v[6:7]
	global_store_b64 v[4:5], v[0:1], off
	global_load_b64 v[0:1], v122, s[12:13] offset:7680
	v_add_co_u32 v4, vcc_lo, v4, s2
	s_wait_alu 0xfffd
	v_add_co_ci_u32_e32 v5, vcc_lo, s3, v5, vcc_lo
	s_wait_loadcnt 0x0
	v_mul_f32_e32 v6, v3, v1
	v_mul_f32_e32 v1, v2, v1
	s_delay_alu instid0(VALU_DEP_2) | instskip(NEXT) | instid1(VALU_DEP_2)
	v_fmac_f32_e32 v6, v2, v0
	v_fma_f32 v2, v0, v3, -v1
	s_delay_alu instid0(VALU_DEP_2) | instskip(NEXT) | instid1(VALU_DEP_2)
	v_cvt_f64_f32_e32 v[0:1], v6
	v_cvt_f64_f32_e32 v[2:3], v2
	s_delay_alu instid0(VALU_DEP_2) | instskip(NEXT) | instid1(VALU_DEP_2)
	v_mul_f64_e32 v[0:1], s[0:1], v[0:1]
	v_mul_f64_e32 v[2:3], s[0:1], v[2:3]
	s_delay_alu instid0(VALU_DEP_2) | instskip(NEXT) | instid1(VALU_DEP_2)
	v_cvt_f32_f64_e32 v0, v[0:1]
	v_cvt_f32_f64_e32 v1, v[2:3]
	global_store_b64 v[4:5], v[0:1], off
	global_load_b64 v[6:7], v122, s[12:13] offset:8640
	v_add_nc_u32_e32 v0, 0x2000, v122
	v_add_co_u32 v4, vcc_lo, v4, s2
	s_wait_alu 0xfffd
	v_add_co_ci_u32_e32 v5, vcc_lo, s3, v5, vcc_lo
	ds_load_2addr_b64 v[0:3], v0 offset0:56 offset1:176
	s_wait_loadcnt_dscnt 0x0
	v_mul_f32_e32 v10, v1, v7
	v_mul_f32_e32 v7, v0, v7
	s_delay_alu instid0(VALU_DEP_2) | instskip(NEXT) | instid1(VALU_DEP_2)
	v_fmac_f32_e32 v10, v0, v6
	v_fma_f32 v6, v6, v1, -v7
	s_delay_alu instid0(VALU_DEP_2) | instskip(NEXT) | instid1(VALU_DEP_2)
	v_cvt_f64_f32_e32 v[0:1], v10
	v_cvt_f64_f32_e32 v[6:7], v6
	s_delay_alu instid0(VALU_DEP_2) | instskip(NEXT) | instid1(VALU_DEP_2)
	v_mul_f64_e32 v[0:1], s[0:1], v[0:1]
	v_mul_f64_e32 v[6:7], s[0:1], v[6:7]
	s_delay_alu instid0(VALU_DEP_2) | instskip(NEXT) | instid1(VALU_DEP_2)
	v_cvt_f32_f64_e32 v0, v[0:1]
	v_cvt_f32_f64_e32 v1, v[6:7]
	global_store_b64 v[4:5], v[0:1], off
	global_load_b64 v[0:1], v122, s[12:13] offset:9600
	v_add_co_u32 v4, vcc_lo, v4, s2
	s_wait_alu 0xfffd
	v_add_co_ci_u32_e32 v5, vcc_lo, s3, v5, vcc_lo
	s_wait_loadcnt 0x0
	v_mul_f32_e32 v6, v3, v1
	v_mul_f32_e32 v1, v2, v1
	s_delay_alu instid0(VALU_DEP_2) | instskip(NEXT) | instid1(VALU_DEP_2)
	v_fmac_f32_e32 v6, v2, v0
	v_fma_f32 v2, v0, v3, -v1
	s_delay_alu instid0(VALU_DEP_2) | instskip(NEXT) | instid1(VALU_DEP_2)
	v_cvt_f64_f32_e32 v[0:1], v6
	v_cvt_f64_f32_e32 v[2:3], v2
	s_delay_alu instid0(VALU_DEP_2) | instskip(NEXT) | instid1(VALU_DEP_2)
	v_mul_f64_e32 v[0:1], s[0:1], v[0:1]
	v_mul_f64_e32 v[2:3], s[0:1], v[2:3]
	s_delay_alu instid0(VALU_DEP_2) | instskip(NEXT) | instid1(VALU_DEP_2)
	v_cvt_f32_f64_e32 v0, v[0:1]
	v_cvt_f32_f64_e32 v1, v[2:3]
	global_store_b64 v[4:5], v[0:1], off
	global_load_b64 v[6:7], v122, s[12:13] offset:10560
	v_add_nc_u32_e32 v0, 0x2800, v122
	v_add_co_u32 v4, vcc_lo, v4, s2
	s_wait_alu 0xfffd
	v_add_co_ci_u32_e32 v5, vcc_lo, s3, v5, vcc_lo
	ds_load_2addr_b64 v[0:3], v0 offset0:40 offset1:160
	s_wait_loadcnt_dscnt 0x0
	v_mul_f32_e32 v10, v1, v7
	v_mul_f32_e32 v7, v0, v7
	s_delay_alu instid0(VALU_DEP_2) | instskip(NEXT) | instid1(VALU_DEP_2)
	v_fmac_f32_e32 v10, v0, v6
	v_fma_f32 v6, v6, v1, -v7
	s_delay_alu instid0(VALU_DEP_2) | instskip(NEXT) | instid1(VALU_DEP_2)
	v_cvt_f64_f32_e32 v[0:1], v10
	v_cvt_f64_f32_e32 v[6:7], v6
	s_delay_alu instid0(VALU_DEP_2) | instskip(NEXT) | instid1(VALU_DEP_2)
	v_mul_f64_e32 v[0:1], s[0:1], v[0:1]
	v_mul_f64_e32 v[6:7], s[0:1], v[6:7]
	s_delay_alu instid0(VALU_DEP_2) | instskip(NEXT) | instid1(VALU_DEP_2)
	v_cvt_f32_f64_e32 v0, v[0:1]
	v_cvt_f32_f64_e32 v1, v[6:7]
	global_store_b64 v[4:5], v[0:1], off
	global_load_b64 v[0:1], v122, s[12:13] offset:11520
	v_add_co_u32 v4, vcc_lo, v4, s2
	s_wait_alu 0xfffd
	v_add_co_ci_u32_e32 v5, vcc_lo, s3, v5, vcc_lo
	s_wait_loadcnt 0x0
	v_mul_f32_e32 v6, v3, v1
	v_mul_f32_e32 v1, v2, v1
	s_delay_alu instid0(VALU_DEP_2) | instskip(NEXT) | instid1(VALU_DEP_2)
	v_fmac_f32_e32 v6, v2, v0
	v_fma_f32 v2, v0, v3, -v1
	s_delay_alu instid0(VALU_DEP_2) | instskip(NEXT) | instid1(VALU_DEP_2)
	v_cvt_f64_f32_e32 v[0:1], v6
	v_cvt_f64_f32_e32 v[2:3], v2
	s_delay_alu instid0(VALU_DEP_2) | instskip(NEXT) | instid1(VALU_DEP_2)
	v_mul_f64_e32 v[0:1], s[0:1], v[0:1]
	v_mul_f64_e32 v[2:3], s[0:1], v[2:3]
	s_delay_alu instid0(VALU_DEP_2) | instskip(NEXT) | instid1(VALU_DEP_2)
	v_cvt_f32_f64_e32 v0, v[0:1]
	v_cvt_f32_f64_e32 v1, v[2:3]
	global_store_b64 v[4:5], v[0:1], off
	global_load_b64 v[6:7], v122, s[12:13] offset:12480
	v_add_nc_u32_e32 v0, 0x3000, v122
	v_add_co_u32 v4, vcc_lo, v4, s2
	s_wait_alu 0xfffd
	v_add_co_ci_u32_e32 v5, vcc_lo, s3, v5, vcc_lo
	ds_load_2addr_b64 v[0:3], v0 offset0:24 offset1:144
	s_wait_loadcnt_dscnt 0x0
	v_mul_f32_e32 v10, v1, v7
	v_mul_f32_e32 v7, v0, v7
	s_delay_alu instid0(VALU_DEP_2) | instskip(NEXT) | instid1(VALU_DEP_2)
	v_fmac_f32_e32 v10, v0, v6
	v_fma_f32 v6, v6, v1, -v7
	s_delay_alu instid0(VALU_DEP_2) | instskip(NEXT) | instid1(VALU_DEP_2)
	v_cvt_f64_f32_e32 v[0:1], v10
	v_cvt_f64_f32_e32 v[6:7], v6
	s_delay_alu instid0(VALU_DEP_2) | instskip(NEXT) | instid1(VALU_DEP_2)
	v_mul_f64_e32 v[0:1], s[0:1], v[0:1]
	v_mul_f64_e32 v[6:7], s[0:1], v[6:7]
	s_delay_alu instid0(VALU_DEP_2) | instskip(NEXT) | instid1(VALU_DEP_2)
	v_cvt_f32_f64_e32 v0, v[0:1]
	v_cvt_f32_f64_e32 v1, v[6:7]
	global_store_b64 v[4:5], v[0:1], off
	global_load_b64 v[0:1], v122, s[12:13] offset:13440
	v_add_co_u32 v4, vcc_lo, v4, s2
	s_wait_alu 0xfffd
	v_add_co_ci_u32_e32 v5, vcc_lo, s3, v5, vcc_lo
	s_wait_loadcnt 0x0
	v_mul_f32_e32 v6, v3, v1
	v_mul_f32_e32 v1, v2, v1
	s_delay_alu instid0(VALU_DEP_2) | instskip(NEXT) | instid1(VALU_DEP_2)
	v_fmac_f32_e32 v6, v2, v0
	v_fma_f32 v2, v0, v3, -v1
	s_delay_alu instid0(VALU_DEP_2) | instskip(NEXT) | instid1(VALU_DEP_2)
	v_cvt_f64_f32_e32 v[0:1], v6
	v_cvt_f64_f32_e32 v[2:3], v2
	s_delay_alu instid0(VALU_DEP_2) | instskip(NEXT) | instid1(VALU_DEP_2)
	v_mul_f64_e32 v[0:1], s[0:1], v[0:1]
	v_mul_f64_e32 v[2:3], s[0:1], v[2:3]
	s_delay_alu instid0(VALU_DEP_2) | instskip(NEXT) | instid1(VALU_DEP_2)
	v_cvt_f32_f64_e32 v0, v[0:1]
	v_cvt_f32_f64_e32 v1, v[2:3]
	global_store_b64 v[4:5], v[0:1], off
	global_load_b64 v[6:7], v122, s[12:13] offset:14400
	v_add_nc_u32_e32 v0, 0x3800, v122
	v_add_co_u32 v4, vcc_lo, v4, s2
	s_wait_alu 0xfffd
	v_add_co_ci_u32_e32 v5, vcc_lo, s3, v5, vcc_lo
	ds_load_2addr_b64 v[0:3], v0 offset0:8 offset1:128
	s_wait_loadcnt_dscnt 0x0
	v_mul_f32_e32 v10, v1, v7
	v_mul_f32_e32 v7, v0, v7
	s_delay_alu instid0(VALU_DEP_2) | instskip(NEXT) | instid1(VALU_DEP_2)
	v_fmac_f32_e32 v10, v0, v6
	v_fma_f32 v6, v6, v1, -v7
	s_delay_alu instid0(VALU_DEP_2) | instskip(NEXT) | instid1(VALU_DEP_2)
	v_cvt_f64_f32_e32 v[0:1], v10
	v_cvt_f64_f32_e32 v[6:7], v6
	s_delay_alu instid0(VALU_DEP_2) | instskip(NEXT) | instid1(VALU_DEP_2)
	v_mul_f64_e32 v[0:1], s[0:1], v[0:1]
	v_mul_f64_e32 v[6:7], s[0:1], v[6:7]
	s_delay_alu instid0(VALU_DEP_2) | instskip(NEXT) | instid1(VALU_DEP_2)
	v_cvt_f32_f64_e32 v0, v[0:1]
	v_cvt_f32_f64_e32 v1, v[6:7]
	global_store_b64 v[4:5], v[0:1], off
	global_load_b64 v[0:1], v122, s[12:13] offset:15360
	s_wait_loadcnt 0x0
	v_mul_f32_e32 v4, v3, v1
	v_mul_f32_e32 v1, v2, v1
	s_delay_alu instid0(VALU_DEP_2) | instskip(NEXT) | instid1(VALU_DEP_2)
	v_fmac_f32_e32 v4, v2, v0
	v_fma_f32 v2, v0, v3, -v1
	s_delay_alu instid0(VALU_DEP_2) | instskip(NEXT) | instid1(VALU_DEP_2)
	v_cvt_f64_f32_e32 v[0:1], v4
	v_cvt_f64_f32_e32 v[2:3], v2
	v_mad_co_u64_u32 v[4:5], null, s4, v121, 0
	s_delay_alu instid0(VALU_DEP_3) | instskip(NEXT) | instid1(VALU_DEP_3)
	v_mul_f64_e32 v[0:1], s[0:1], v[0:1]
	v_mul_f64_e32 v[2:3], s[0:1], v[2:3]
	s_delay_alu instid0(VALU_DEP_2) | instskip(NEXT) | instid1(VALU_DEP_2)
	v_cvt_f32_f64_e32 v0, v[0:1]
	v_cvt_f32_f64_e32 v1, v[2:3]
	v_mov_b32_e32 v2, v5
	s_delay_alu instid0(VALU_DEP_1) | instskip(NEXT) | instid1(VALU_DEP_1)
	v_mad_co_u64_u32 v[2:3], null, s5, v121, v[2:3]
	v_mov_b32_e32 v5, v2
	s_delay_alu instid0(VALU_DEP_1) | instskip(NEXT) | instid1(VALU_DEP_1)
	v_lshlrev_b64_e32 v[2:3], 3, v[4:5]
	v_add_co_u32 v2, vcc_lo, v8, v2
	s_wait_alu 0xfffd
	s_delay_alu instid0(VALU_DEP_2)
	v_add_co_ci_u32_e32 v3, vcc_lo, v9, v3, vcc_lo
	global_store_b64 v[2:3], v[0:1], off
.LBB0_23:
	s_nop 0
	s_sendmsg sendmsg(MSG_DEALLOC_VGPRS)
	s_endpgm
	.section	.rodata,"a",@progbits
	.p2align	6, 0x0
	.amdhsa_kernel bluestein_single_back_len2040_dim1_sp_op_CI_CI
		.amdhsa_group_segment_fixed_size 16320
		.amdhsa_private_segment_fixed_size 0
		.amdhsa_kernarg_size 104
		.amdhsa_user_sgpr_count 2
		.amdhsa_user_sgpr_dispatch_ptr 0
		.amdhsa_user_sgpr_queue_ptr 0
		.amdhsa_user_sgpr_kernarg_segment_ptr 1
		.amdhsa_user_sgpr_dispatch_id 0
		.amdhsa_user_sgpr_private_segment_size 0
		.amdhsa_wavefront_size32 1
		.amdhsa_uses_dynamic_stack 0
		.amdhsa_enable_private_segment 0
		.amdhsa_system_sgpr_workgroup_id_x 1
		.amdhsa_system_sgpr_workgroup_id_y 0
		.amdhsa_system_sgpr_workgroup_id_z 0
		.amdhsa_system_sgpr_workgroup_info 0
		.amdhsa_system_vgpr_workitem_id 0
		.amdhsa_next_free_vgpr 249
		.amdhsa_next_free_sgpr 16
		.amdhsa_reserve_vcc 1
		.amdhsa_float_round_mode_32 0
		.amdhsa_float_round_mode_16_64 0
		.amdhsa_float_denorm_mode_32 3
		.amdhsa_float_denorm_mode_16_64 3
		.amdhsa_fp16_overflow 0
		.amdhsa_workgroup_processor_mode 1
		.amdhsa_memory_ordered 1
		.amdhsa_forward_progress 0
		.amdhsa_round_robin_scheduling 0
		.amdhsa_exception_fp_ieee_invalid_op 0
		.amdhsa_exception_fp_denorm_src 0
		.amdhsa_exception_fp_ieee_div_zero 0
		.amdhsa_exception_fp_ieee_overflow 0
		.amdhsa_exception_fp_ieee_underflow 0
		.amdhsa_exception_fp_ieee_inexact 0
		.amdhsa_exception_int_div_zero 0
	.end_amdhsa_kernel
	.text
.Lfunc_end0:
	.size	bluestein_single_back_len2040_dim1_sp_op_CI_CI, .Lfunc_end0-bluestein_single_back_len2040_dim1_sp_op_CI_CI
                                        ; -- End function
	.section	.AMDGPU.csdata,"",@progbits
; Kernel info:
; codeLenInByte = 25112
; NumSgprs: 18
; NumVgprs: 249
; ScratchSize: 0
; MemoryBound: 0
; FloatMode: 240
; IeeeMode: 1
; LDSByteSize: 16320 bytes/workgroup (compile time only)
; SGPRBlocks: 2
; VGPRBlocks: 31
; NumSGPRsForWavesPerEU: 18
; NumVGPRsForWavesPerEU: 249
; Occupancy: 5
; WaveLimiterHint : 1
; COMPUTE_PGM_RSRC2:SCRATCH_EN: 0
; COMPUTE_PGM_RSRC2:USER_SGPR: 2
; COMPUTE_PGM_RSRC2:TRAP_HANDLER: 0
; COMPUTE_PGM_RSRC2:TGID_X_EN: 1
; COMPUTE_PGM_RSRC2:TGID_Y_EN: 0
; COMPUTE_PGM_RSRC2:TGID_Z_EN: 0
; COMPUTE_PGM_RSRC2:TIDIG_COMP_CNT: 0
	.text
	.p2alignl 7, 3214868480
	.fill 96, 4, 3214868480
	.type	__hip_cuid_56c16de6271c2cb8,@object ; @__hip_cuid_56c16de6271c2cb8
	.section	.bss,"aw",@nobits
	.globl	__hip_cuid_56c16de6271c2cb8
__hip_cuid_56c16de6271c2cb8:
	.byte	0                               ; 0x0
	.size	__hip_cuid_56c16de6271c2cb8, 1

	.ident	"AMD clang version 19.0.0git (https://github.com/RadeonOpenCompute/llvm-project roc-6.4.0 25133 c7fe45cf4b819c5991fe208aaa96edf142730f1d)"
	.section	".note.GNU-stack","",@progbits
	.addrsig
	.addrsig_sym __hip_cuid_56c16de6271c2cb8
	.amdgpu_metadata
---
amdhsa.kernels:
  - .args:
      - .actual_access:  read_only
        .address_space:  global
        .offset:         0
        .size:           8
        .value_kind:     global_buffer
      - .actual_access:  read_only
        .address_space:  global
        .offset:         8
        .size:           8
        .value_kind:     global_buffer
      - .actual_access:  read_only
        .address_space:  global
        .offset:         16
        .size:           8
        .value_kind:     global_buffer
      - .actual_access:  read_only
        .address_space:  global
        .offset:         24
        .size:           8
        .value_kind:     global_buffer
      - .actual_access:  read_only
        .address_space:  global
        .offset:         32
        .size:           8
        .value_kind:     global_buffer
      - .offset:         40
        .size:           8
        .value_kind:     by_value
      - .address_space:  global
        .offset:         48
        .size:           8
        .value_kind:     global_buffer
      - .address_space:  global
        .offset:         56
        .size:           8
        .value_kind:     global_buffer
      - .address_space:  global
        .offset:         64
        .size:           8
        .value_kind:     global_buffer
      - .address_space:  global
        .offset:         72
        .size:           8
        .value_kind:     global_buffer
      - .offset:         80
        .size:           4
        .value_kind:     by_value
      - .address_space:  global
        .offset:         88
        .size:           8
        .value_kind:     global_buffer
      - .address_space:  global
        .offset:         96
        .size:           8
        .value_kind:     global_buffer
    .group_segment_fixed_size: 16320
    .kernarg_segment_align: 8
    .kernarg_segment_size: 104
    .language:       OpenCL C
    .language_version:
      - 2
      - 0
    .max_flat_workgroup_size: 170
    .name:           bluestein_single_back_len2040_dim1_sp_op_CI_CI
    .private_segment_fixed_size: 0
    .sgpr_count:     18
    .sgpr_spill_count: 0
    .symbol:         bluestein_single_back_len2040_dim1_sp_op_CI_CI.kd
    .uniform_work_group_size: 1
    .uses_dynamic_stack: false
    .vgpr_count:     249
    .vgpr_spill_count: 0
    .wavefront_size: 32
    .workgroup_processor_mode: 1
amdhsa.target:   amdgcn-amd-amdhsa--gfx1201
amdhsa.version:
  - 1
  - 2
...

	.end_amdgpu_metadata
